;; amdgpu-corpus repo=ROCm/rocFFT kind=compiled arch=gfx1030 opt=O3
	.text
	.amdgcn_target "amdgcn-amd-amdhsa--gfx1030"
	.amdhsa_code_object_version 6
	.protected	bluestein_single_back_len1638_dim1_half_op_CI_CI ; -- Begin function bluestein_single_back_len1638_dim1_half_op_CI_CI
	.globl	bluestein_single_back_len1638_dim1_half_op_CI_CI
	.p2align	8
	.type	bluestein_single_back_len1638_dim1_half_op_CI_CI,@function
bluestein_single_back_len1638_dim1_half_op_CI_CI: ; @bluestein_single_back_len1638_dim1_half_op_CI_CI
; %bb.0:
	s_load_dwordx4 s[0:3], s[4:5], 0x28
	v_mul_u32_u24_e32 v1, 0x169, v0
	v_mov_b32_e32 v9, 0
	v_lshrrev_b32_e32 v1, 16, v1
	v_add_nc_u32_e32 v8, s6, v1
	s_waitcnt lgkmcnt(0)
	v_cmp_gt_u64_e32 vcc_lo, s[0:1], v[8:9]
	s_and_saveexec_b32 s0, vcc_lo
	s_cbranch_execz .LBB0_31
; %bb.1:
	s_clause 0x1
	s_load_dwordx2 s[14:15], s[4:5], 0x0
	s_load_dwordx2 s[12:13], s[4:5], 0x38
	v_mul_lo_u16 v1, 0xb6, v1
	v_sub_nc_u16 v0, v0, v1
	v_and_b32_e32 v41, 0xffff, v0
	v_cmp_gt_u16_e32 vcc_lo, 0x7e, v0
	v_lshlrev_b32_e32 v40, 2, v41
	s_and_saveexec_b32 s1, vcc_lo
	s_cbranch_execz .LBB0_3
; %bb.2:
	s_load_dwordx2 s[6:7], s[4:5], 0x18
	v_add_nc_u32_e32 v29, 0x600, v40
	v_add_nc_u32_e32 v33, 0xa00, v40
	s_waitcnt lgkmcnt(0)
	s_load_dwordx4 s[8:11], s[6:7], 0x0
	s_clause 0x4
	global_load_dword v9, v40, s[14:15]
	global_load_dword v10, v40, s[14:15] offset:504
	global_load_dword v11, v40, s[14:15] offset:1008
	;; [unrolled: 1-line block ×4, first 2 shown]
	s_waitcnt lgkmcnt(0)
	v_mad_u64_u32 v[0:1], null, s10, v8, 0
	v_mad_u64_u32 v[2:3], null, s8, v41, 0
	s_mul_i32 s6, s9, 0x1f8
	s_mul_hi_u32 s7, s8, 0x1f8
	s_add_i32 s7, s7, s6
	v_mad_u64_u32 v[4:5], null, s11, v8, v[1:2]
	v_mad_u64_u32 v[5:6], null, s9, v41, v[3:4]
	v_mov_b32_e32 v1, v4
	v_add_co_u32 v6, s0, s14, v40
	v_add_co_ci_u32_e64 v7, null, s15, 0, s0
	v_lshlrev_b64 v[0:1], 2, v[0:1]
	v_mov_b32_e32 v3, v5
	v_add_co_u32 v4, s0, 0x800, v6
	v_add_co_ci_u32_e64 v5, s0, 0, v7, s0
	v_lshlrev_b64 v[2:3], 2, v[2:3]
	v_add_co_u32 v0, s0, s2, v0
	v_add_co_ci_u32_e64 v1, s0, s3, v1, s0
	s_mul_i32 s2, s8, 0x1f8
	v_add_co_u32 v0, s0, v0, v2
	v_add_co_ci_u32_e64 v1, s0, v1, v3, s0
	v_add_co_u32 v2, s0, v0, s2
	v_add_co_ci_u32_e64 v3, s0, s7, v1, s0
	s_clause 0x1
	global_load_dword v14, v[0:1], off
	global_load_dword v15, v[2:3], off
	v_add_co_u32 v0, s0, v2, s2
	v_add_co_ci_u32_e64 v1, s0, s7, v3, s0
	v_add_co_u32 v2, s0, v0, s2
	v_add_co_ci_u32_e64 v3, s0, s7, v1, s0
	s_clause 0x1
	global_load_dword v16, v[0:1], off
	global_load_dword v17, v[2:3], off
	v_add_co_u32 v0, s0, v2, s2
	v_add_co_ci_u32_e64 v1, s0, s7, v3, s0
	v_add_co_u32 v2, s0, v0, s2
	v_add_co_ci_u32_e64 v3, s0, s7, v1, s0
	v_add_co_u32 v6, s0, 0x1000, v6
	global_load_dword v18, v[0:1], off
	global_load_dword v19, v[2:3], off
	v_add_co_ci_u32_e64 v7, s0, 0, v7, s0
	v_add_co_u32 v0, s0, v2, s2
	v_add_co_ci_u32_e64 v1, s0, s7, v3, s0
	s_clause 0x3
	global_load_dword v20, v[4:5], off offset:472
	global_load_dword v21, v[4:5], off offset:976
	;; [unrolled: 1-line block ×4, first 2 shown]
	global_load_dword v5, v[0:1], off
	v_add_co_u32 v0, s0, v0, s2
	v_add_co_ci_u32_e64 v1, s0, s7, v1, s0
	global_load_dword v23, v[6:7], off offset:440
	v_add_co_u32 v2, s0, v0, s2
	v_add_co_ci_u32_e64 v3, s0, s7, v1, s0
	global_load_dword v24, v[0:1], off
	v_add_co_u32 v0, s0, v2, s2
	v_add_co_ci_u32_e64 v1, s0, s7, v3, s0
	global_load_dword v25, v[2:3], off
	;; [unrolled: 3-line block ×4, first 2 shown]
	v_add_co_u32 v2, s0, v0, s2
	v_add_co_ci_u32_e64 v3, s0, s7, v1, s0
	global_load_dword v28, v[6:7], off offset:944
	global_load_dword v0, v[0:1], off
	global_load_dword v1, v[2:3], off
	s_clause 0x1
	global_load_dword v2, v[6:7], off offset:1448
	global_load_dword v3, v[6:7], off offset:1952
	v_add_nc_u32_e32 v7, 0x200, v40
	s_waitcnt vmcnt(20)
	v_lshrrev_b32_e32 v6, 16, v14
	v_mul_f16_sdwa v30, v9, v14 dst_sel:DWORD dst_unused:UNUSED_PAD src0_sel:WORD_1 src1_sel:DWORD
	s_waitcnt vmcnt(19)
	v_lshrrev_b32_e32 v32, 16, v15
	v_mul_f16_sdwa v34, v10, v15 dst_sel:DWORD dst_unused:UNUSED_PAD src0_sel:WORD_1 src1_sel:DWORD
	v_mul_f16_sdwa v31, v9, v6 dst_sel:DWORD dst_unused:UNUSED_PAD src0_sel:WORD_1 src1_sel:DWORD
	v_fma_f16 v6, v9, v6, -v30
	v_fma_f16 v30, v10, v32, -v34
	v_fmac_f16_e32 v31, v9, v14
	v_mul_f16_sdwa v9, v10, v32 dst_sel:DWORD dst_unused:UNUSED_PAD src0_sel:WORD_1 src1_sel:DWORD
	s_waitcnt vmcnt(18)
	v_lshrrev_b32_e32 v14, 16, v16
	v_mul_f16_sdwa v32, v11, v16 dst_sel:DWORD dst_unused:UNUSED_PAD src0_sel:WORD_1 src1_sel:DWORD
	v_pack_b32_f16 v6, v31, v6
	v_fmac_f16_e32 v9, v10, v15
	s_waitcnt vmcnt(17)
	v_lshrrev_b32_e32 v15, 16, v17
	v_mul_f16_sdwa v10, v11, v14 dst_sel:DWORD dst_unused:UNUSED_PAD src0_sel:WORD_1 src1_sel:DWORD
	v_mul_f16_sdwa v31, v12, v17 dst_sel:DWORD dst_unused:UNUSED_PAD src0_sel:WORD_1 src1_sel:DWORD
	v_fma_f16 v14, v11, v14, -v32
	v_pack_b32_f16 v9, v9, v30
	v_fmac_f16_e32 v10, v11, v16
	v_mul_f16_sdwa v11, v12, v15 dst_sel:DWORD dst_unused:UNUSED_PAD src0_sel:WORD_1 src1_sel:DWORD
	v_fma_f16 v15, v12, v15, -v31
	ds_write2_b32 v40, v6, v9 offset1:126
	s_waitcnt vmcnt(16)
	v_lshrrev_b32_e32 v16, 16, v18
	v_mul_f16_sdwa v30, v13, v18 dst_sel:DWORD dst_unused:UNUSED_PAD src0_sel:WORD_1 src1_sel:DWORD
	v_pack_b32_f16 v6, v10, v14
	v_fmac_f16_e32 v11, v12, v17
	s_waitcnt vmcnt(15)
	v_lshrrev_b32_e32 v10, 16, v19
	v_mul_f16_sdwa v9, v13, v16 dst_sel:DWORD dst_unused:UNUSED_PAD src0_sel:WORD_1 src1_sel:DWORD
	s_waitcnt vmcnt(14)
	v_mul_f16_sdwa v12, v20, v19 dst_sel:DWORD dst_unused:UNUSED_PAD src0_sel:WORD_1 src1_sel:DWORD
	v_fma_f16 v14, v13, v16, -v30
	v_pack_b32_f16 v11, v11, v15
	s_waitcnt vmcnt(10)
	v_mul_f16_sdwa v15, v21, v5 dst_sel:DWORD dst_unused:UNUSED_PAD src0_sel:WORD_1 src1_sel:DWORD
	v_fmac_f16_e32 v9, v13, v18
	v_mul_f16_sdwa v13, v20, v10 dst_sel:DWORD dst_unused:UNUSED_PAD src0_sel:WORD_1 src1_sel:DWORD
	v_fma_f16 v10, v20, v10, -v12
	v_lshrrev_b32_e32 v12, 16, v5
	ds_write2_b32 v7, v6, v11 offset0:124 offset1:250
	v_pack_b32_f16 v6, v9, v14
	v_fmac_f16_e32 v13, v20, v19
	v_mul_f16_sdwa v7, v21, v12 dst_sel:DWORD dst_unused:UNUSED_PAD src0_sel:WORD_1 src1_sel:DWORD
	s_waitcnt vmcnt(8)
	v_lshrrev_b32_e32 v9, 16, v24
	v_fma_f16 v11, v21, v12, -v15
	v_mul_f16_sdwa v12, v22, v24 dst_sel:DWORD dst_unused:UNUSED_PAD src0_sel:WORD_1 src1_sel:DWORD
	v_pack_b32_f16 v10, v13, v10
	v_fmac_f16_e32 v7, v21, v5
	s_waitcnt vmcnt(7)
	v_lshrrev_b32_e32 v13, 16, v25
	v_mul_f16_sdwa v5, v22, v9 dst_sel:DWORD dst_unused:UNUSED_PAD src0_sel:WORD_1 src1_sel:DWORD
	v_fma_f16 v9, v22, v9, -v12
	v_mul_f16_sdwa v12, v4, v25 dst_sel:DWORD dst_unused:UNUSED_PAD src0_sel:WORD_1 src1_sel:DWORD
	v_pack_b32_f16 v7, v7, v11
	v_mul_f16_sdwa v11, v4, v13 dst_sel:DWORD dst_unused:UNUSED_PAD src0_sel:WORD_1 src1_sel:DWORD
	s_waitcnt vmcnt(6)
	v_lshrrev_b32_e32 v14, 16, v26
	v_fmac_f16_e32 v5, v22, v24
	v_fma_f16 v12, v4, v13, -v12
	v_mul_f16_sdwa v13, v23, v26 dst_sel:DWORD dst_unused:UNUSED_PAD src0_sel:WORD_1 src1_sel:DWORD
	v_fmac_f16_e32 v11, v4, v25
	v_mul_f16_sdwa v4, v23, v14 dst_sel:DWORD dst_unused:UNUSED_PAD src0_sel:WORD_1 src1_sel:DWORD
	v_pack_b32_f16 v5, v5, v9
	s_waitcnt vmcnt(5)
	v_lshrrev_b32_e32 v9, 16, v27
	v_fma_f16 v13, v23, v14, -v13
	s_waitcnt vmcnt(4)
	v_mul_f16_sdwa v14, v28, v27 dst_sel:DWORD dst_unused:UNUSED_PAD src0_sel:WORD_1 src1_sel:DWORD
	v_fmac_f16_e32 v4, v23, v26
	s_waitcnt vmcnt(3)
	v_lshrrev_b32_e32 v15, 16, v0
	s_waitcnt vmcnt(2)
	v_lshrrev_b32_e32 v16, 16, v1
	v_pack_b32_f16 v11, v11, v12
	v_mul_f16_sdwa v12, v28, v9 dst_sel:DWORD dst_unused:UNUSED_PAD src0_sel:WORD_1 src1_sel:DWORD
	v_fma_f16 v9, v28, v9, -v14
	s_waitcnt vmcnt(1)
	v_mul_f16_sdwa v14, v2, v0 dst_sel:DWORD dst_unused:UNUSED_PAD src0_sel:WORD_1 src1_sel:DWORD
	v_pack_b32_f16 v4, v4, v13
	v_mul_f16_sdwa v13, v2, v15 dst_sel:DWORD dst_unused:UNUSED_PAD src0_sel:WORD_1 src1_sel:DWORD
	s_waitcnt vmcnt(0)
	v_mul_f16_sdwa v17, v3, v16 dst_sel:DWORD dst_unused:UNUSED_PAD src0_sel:WORD_1 src1_sel:DWORD
	v_mul_f16_sdwa v18, v3, v1 dst_sel:DWORD dst_unused:UNUSED_PAD src0_sel:WORD_1 src1_sel:DWORD
	v_fmac_f16_e32 v12, v28, v27
	v_fma_f16 v14, v2, v15, -v14
	v_fmac_f16_e32 v13, v2, v0
	v_fmac_f16_e32 v17, v3, v1
	v_fma_f16 v0, v3, v16, -v18
	v_add_nc_u32_e32 v1, 0xe00, v40
	v_pack_b32_f16 v2, v12, v9
	v_pack_b32_f16 v3, v13, v14
	v_add_nc_u32_e32 v9, 0x1200, v40
	v_pack_b32_f16 v0, v17, v0
	ds_write2_b32 v29, v6, v10 offset0:120 offset1:246
	ds_write2_b32 v33, v7, v5 offset0:116 offset1:242
	;; [unrolled: 1-line block ×4, first 2 shown]
	ds_write_b32 v40, v0 offset:6048
.LBB0_3:
	s_or_b32 exec_lo, exec_lo, s1
	v_mov_b32_e32 v4, 0
                                        ; kill: def $vgpr0 killed $sgpr0 killed $exec
	s_waitcnt lgkmcnt(0)
	s_barrier
	buffer_gl0_inv
                                        ; implicit-def: $vgpr13
                                        ; implicit-def: $vgpr1
                                        ; implicit-def: $vgpr3
                                        ; implicit-def: $vgpr7
                                        ; implicit-def: $vgpr10
                                        ; implicit-def: $vgpr12
	s_and_saveexec_b32 s0, vcc_lo
	s_cbranch_execz .LBB0_5
; %bb.4:
	v_add_nc_u32_e32 v0, 0x200, v40
	v_add_nc_u32_e32 v1, 0x600, v40
	;; [unrolled: 1-line block ×5, first 2 shown]
	ds_read2_b32 v[4:5], v40 offset1:126
	ds_read2_b32 v[11:12], v0 offset0:124 offset1:250
	ds_read2_b32 v[9:10], v1 offset0:120 offset1:246
	;; [unrolled: 1-line block ×5, first 2 shown]
	ds_read_b32 v13, v40 offset:6048
.LBB0_5:
	s_or_b32 exec_lo, exec_lo, s0
	s_waitcnt lgkmcnt(0)
	v_pk_add_f16 v15, v5, v13 neg_lo:[0,1] neg_hi:[0,1]
	v_mov_b32_e32 v16, 0xb770
	v_pk_add_f16 v14, v13, v5
	v_mov_b32_e32 v17, 0xbbf1
	v_mov_b32_e32 v37, 0xba95
	v_mul_f16_e32 v43, 0xbbf1, v15
	v_mul_f16_sdwa v24, v15, v16 dst_sel:DWORD dst_unused:UNUSED_PAD src0_sel:WORD_1 src1_sel:DWORD
	v_mov_b32_e32 v16, 0xbb7b
	v_lshrrev_b32_e32 v52, 16, v14
	v_mul_f16_e32 v51, 0xbb7b, v15
	v_mul_f16_e32 v66, 0xb94e, v15
	v_fmamk_f16 v18, v14, 0x3b15, v24
	v_mul_f16_sdwa v45, v15, v16 dst_sel:DWORD dst_unused:UNUSED_PAD src0_sel:WORD_1 src1_sel:DWORD
	v_mul_f16_e32 v31, 0xba95, v15
	v_fma_f16 v27, v52, 0xb5ac, -v51
	v_mul_f16_sdwa v33, v15, v17 dst_sel:DWORD dst_unused:UNUSED_PAD src0_sel:WORD_1 src1_sel:DWORD
	v_add_f16_e32 v21, v18, v4
	v_fmamk_f16 v23, v14, 0xb5ac, v45
	v_fma_f16 v18, v52, 0x2fb7, -v43
	v_add_f16_sdwa v30, v27, v4 dst_sel:DWORD dst_unused:UNUSED_PAD src0_sel:DWORD src1_sel:WORD_1
	v_fma_f16 v27, v52, 0xb9fd, -v66
	v_mov_b32_e32 v38, 0xb3a8
	v_add_f16_e32 v26, v23, v4
	v_pk_add_f16 v23, v11, v1 neg_lo:[0,1] neg_hi:[0,1]
	v_add_f16_sdwa v25, v18, v4 dst_sel:DWORD dst_unused:UNUSED_PAD src0_sel:DWORD src1_sel:WORD_1
	v_pk_add_f16 v18, v1, v11
	v_fma_f16 v19, v52, 0x388b, -v31
	v_fmamk_f16 v20, v14, 0x2fb7, v33
	v_mul_f16_sdwa v29, v23, v37 dst_sel:DWORD dst_unused:UNUSED_PAD src0_sel:WORD_1 src1_sel:DWORD
	v_mov_b32_e32 v22, 0xb94e
	v_lshrrev_b32_e32 v58, 16, v18
	v_mul_f16_e32 v36, 0xbb7b, v23
	v_add_f16_sdwa v32, v27, v4 dst_sel:DWORD dst_unused:UNUSED_PAD src0_sel:DWORD src1_sel:WORD_1
	v_mov_b32_e32 v27, 0x394e
	v_fmamk_f16 v34, v18, 0x388b, v29
	v_mul_f16_sdwa v44, v23, v38 dst_sel:DWORD dst_unused:UNUSED_PAD src0_sel:WORD_1 src1_sel:DWORD
	v_mul_f16_e32 v48, 0xb3a8, v23
	v_add_f16_sdwa v19, v19, v4 dst_sel:DWORD dst_unused:UNUSED_PAD src0_sel:DWORD src1_sel:WORD_1
	v_add_f16_e32 v20, v20, v4
	v_mul_f16_sdwa v59, v15, v22 dst_sel:DWORD dst_unused:UNUSED_PAD src0_sel:WORD_1 src1_sel:DWORD
	v_fma_f16 v35, v58, 0xb5ac, -v36
	v_mul_f16_sdwa v56, v23, v27 dst_sel:DWORD dst_unused:UNUSED_PAD src0_sel:WORD_1 src1_sel:DWORD
	v_add_f16_e32 v21, v34, v21
	v_fmamk_f16 v27, v18, 0xbbc4, v44
	v_fma_f16 v34, v58, 0xbbc4, -v48
	v_mul_f16_e32 v62, 0x394e, v23
	v_mov_b32_e32 v39, 0x3bf1
	v_fmamk_f16 v28, v14, 0xb9fd, v59
	v_add_f16_e32 v19, v35, v19
	v_fmamk_f16 v35, v18, 0xb9fd, v56
	v_add_f16_e32 v20, v27, v20
	v_add_f16_e32 v25, v34, v25
	v_fma_f16 v34, v58, 0xb9fd, -v62
	v_mul_f16_sdwa v72, v23, v39 dst_sel:DWORD dst_unused:UNUSED_PAD src0_sel:WORD_1 src1_sel:DWORD
	v_pk_add_f16 v27, v12, v0 neg_lo:[0,1] neg_hi:[0,1]
	v_add_f16_e32 v28, v28, v4
	v_add_f16_e32 v35, v35, v26
	v_mul_f16_e32 v80, 0x3bf1, v23
	v_pk_add_f16 v26, v0, v12
	v_add_f16_e32 v39, v34, v30
	v_fmamk_f16 v30, v18, 0x2fb7, v72
	v_mul_f16_sdwa v34, v27, v17 dst_sel:DWORD dst_unused:UNUSED_PAD src0_sel:WORD_1 src1_sel:DWORD
	v_mov_b32_e32 v54, 0x3770
	v_fma_f16 v42, v58, 0x2fb7, -v80
	v_lshrrev_b32_e32 v65, 16, v26
	v_mov_b32_e32 v46, 0x3b7b
	v_mul_f16_e32 v47, 0xb3a8, v27
	v_add_f16_e32 v28, v30, v28
	v_fmamk_f16 v30, v26, 0x2fb7, v34
	v_mul_f16_sdwa v63, v27, v54 dst_sel:DWORD dst_unused:UNUSED_PAD src0_sel:WORD_1 src1_sel:DWORD
	v_add_f16_e32 v42, v42, v32
	v_mul_f16_sdwa v49, v27, v46 dst_sel:DWORD dst_unused:UNUSED_PAD src0_sel:WORD_1 src1_sel:DWORD
	v_mul_f16_e32 v57, 0x3b7b, v27
	v_fma_f16 v32, v65, 0xbbc4, -v47
	v_add_f16_e32 v21, v30, v21
	v_fmamk_f16 v30, v26, 0x3b15, v63
	v_fmamk_f16 v46, v26, 0xb5ac, v49
	v_fma_f16 v50, v65, 0xb5ac, -v57
	v_add_f16_e32 v19, v32, v19
	v_mul_f16_e32 v78, 0x3770, v27
	v_add_f16_e32 v35, v30, v35
	v_mul_f16_sdwa v83, v27, v37 dst_sel:DWORD dst_unused:UNUSED_PAD src0_sel:WORD_1 src1_sel:DWORD
	v_pk_add_f16 v32, v9, v3 neg_lo:[0,1] neg_hi:[0,1]
	v_pk_add_f16 v30, v3, v9
	v_add_f16_e32 v20, v46, v20
	v_add_f16_e32 v25, v50, v25
	v_fma_f16 v53, v65, 0x3b15, -v78
	v_fmamk_f16 v55, v26, 0x388b, v83
	v_mul_f16_sdwa v46, v32, v16 dst_sel:DWORD dst_unused:UNUSED_PAD src0_sel:WORD_1 src1_sel:DWORD
	v_lshrrev_b32_e32 v79, 16, v30
	v_mul_f16_e32 v50, 0x394e, v32
	v_add_f16_e32 v53, v53, v39
	v_add_f16_e32 v28, v55, v28
	v_fmamk_f16 v39, v30, 0xb5ac, v46
	v_mul_f16_sdwa v61, v32, v54 dst_sel:DWORD dst_unused:UNUSED_PAD src0_sel:WORD_1 src1_sel:DWORD
	v_fma_f16 v55, v79, 0xb9fd, -v50
	v_mul_f16_e32 v64, 0x3770, v32
	v_mul_f16_sdwa v75, v32, v17 dst_sel:DWORD dst_unused:UNUSED_PAD src0_sel:WORD_1 src1_sel:DWORD
	v_mul_f16_e32 v93, 0xba95, v27
	v_add_f16_e32 v17, v39, v21
	v_add_f16_e32 v19, v55, v19
	v_fmamk_f16 v21, v30, 0x3b15, v61
	v_fma_f16 v39, v79, 0x3b15, -v64
	v_fmamk_f16 v55, v30, 0x2fb7, v75
	v_mul_f16_e32 v82, 0xbbf1, v32
	v_mov_b32_e32 v67, 0x33a8
	v_fma_f16 v60, v65, 0x388b, -v93
	v_add_f16_e32 v20, v21, v20
	v_add_f16_e32 v21, v39, v25
	;; [unrolled: 1-line block ×3, first 2 shown]
	v_fma_f16 v55, v79, 0x2fb7, -v82
	v_mul_f16_sdwa v94, v32, v67 dst_sel:DWORD dst_unused:UNUSED_PAD src0_sel:WORD_1 src1_sel:DWORD
	v_mul_f16_e32 v97, 0x33a8, v32
	v_pk_add_f16 v39, v10, v2 neg_lo:[0,1] neg_hi:[0,1]
	v_pk_add_f16 v35, v2, v10
	v_add_f16_e32 v42, v60, v42
	v_add_f16_e32 v55, v55, v53
	v_fmamk_f16 v68, v30, 0xbbc4, v94
	v_fma_f16 v69, v79, 0xbbc4, -v97
	v_mul_f16_sdwa v53, v39, v22 dst_sel:DWORD dst_unused:UNUSED_PAD src0_sel:WORD_1 src1_sel:DWORD
	v_lshrrev_b32_e32 v87, 16, v35
	v_mul_f16_e32 v60, 0x3bf1, v39
	v_mul_f16_sdwa v70, v39, v37 dst_sel:DWORD dst_unused:UNUSED_PAD src0_sel:WORD_1 src1_sel:DWORD
	v_add_f16_e32 v28, v68, v28
	v_fmamk_f16 v37, v35, 0xb9fd, v53
	v_add_f16_e32 v42, v69, v42
	v_fma_f16 v68, v87, 0x2fb7, -v60
	v_mul_f16_e32 v77, 0xba95, v39
	v_fmamk_f16 v69, v35, 0x388b, v70
	v_mul_f16_sdwa v84, v39, v67 dst_sel:DWORD dst_unused:UNUSED_PAD src0_sel:WORD_1 src1_sel:DWORD
	v_pk_mul_f16 v85, 0x3b15388b, v14
	v_add_f16_e32 v17, v37, v17
	v_add_f16_e32 v37, v68, v19
	v_fma_f16 v19, v87, 0x388b, -v77
	v_add_f16_e32 v105, v69, v20
	v_fmamk_f16 v20, v35, 0xbbc4, v84
	v_mul_f16_e32 v96, 0x33a8, v39
	v_pk_mul_f16 v86, 0x388bb5ac, v18
	v_pk_fma_f16 v67, 0xba95b770, v15, v85 op_sel:[0,0,1] op_sel_hi:[1,1,0]
	v_add_f16_e32 v21, v19, v21
	v_add_f16_e32 v25, v20, v25
	v_fma_f16 v19, v87, 0xbbc4, -v96
	v_mul_f16_sdwa v100, v39, v54 dst_sel:DWORD dst_unused:UNUSED_PAD src0_sel:WORD_1 src1_sel:DWORD
	v_pk_fma_f16 v68, 0xbb7bba95, v23, v86 op_sel:[0,0,1] op_sel_hi:[1,1,0]
	v_add_f16_sdwa v20, v67, v4 dst_sel:DWORD dst_unused:UNUSED_PAD src0_sel:WORD_1 src1_sel:DWORD
	v_pk_mul_f16 v89, 0x2fb7bbc4, v26
	v_add_f16_e32 v106, v19, v55
	v_fmamk_f16 v19, v35, 0x3b15, v100
	v_mul_f16_e32 v102, 0x3770, v39
	v_add_f16_sdwa v20, v68, v20 dst_sel:DWORD dst_unused:UNUSED_PAD src0_sel:WORD_1 src1_sel:DWORD
	v_pk_fma_f16 v69, 0xb3a8bbf1, v27, v89 op_sel:[0,0,1] op_sel_hi:[1,1,0]
	v_pk_mul_f16 v91, 0xb5acb9fd, v30
	v_pk_add_f16 v55, v6, v7 neg_lo:[0,1] neg_hi:[0,1]
	v_add_f16_e32 v107, v19, v28
	v_fma_f16 v19, v87, 0x3b15, -v102
	v_add_f16_sdwa v20, v69, v20 dst_sel:DWORD dst_unused:UNUSED_PAD src0_sel:WORD_1 src1_sel:DWORD
	v_pk_fma_f16 v73, 0x394ebb7b, v32, v91 op_sel:[0,0,1] op_sel_hi:[1,1,0]
	v_pk_add_f16 v54, v7, v6
	v_mul_f16_sdwa v71, v55, v38 dst_sel:DWORD dst_unused:UNUSED_PAD src0_sel:WORD_1 src1_sel:DWORD
	v_add_f16_e32 v38, v19, v42
	v_mul_f16_e32 v81, 0x3770, v55
	v_add_f16_sdwa v19, v73, v20 dst_sel:DWORD dst_unused:UNUSED_PAD src0_sel:WORD_1 src1_sel:DWORD
	v_lshrrev_b32_e32 v98, 16, v54
	v_fmamk_f16 v20, v54, 0xbbc4, v71
	v_mul_f16_e32 v92, 0xb94e, v55
	v_pk_fma_f16 v88, 0xba95b770, v15, v85 op_sel:[0,0,1] op_sel_hi:[1,1,0] neg_lo:[0,1,0] neg_hi:[0,1,0]
	v_pk_fma_f16 v90, 0xbb7bba95, v23, v86 op_sel:[0,0,1] op_sel_hi:[1,1,0] neg_lo:[0,1,0] neg_hi:[0,1,0]
	v_fma_f16 v28, v98, 0x3b15, -v81
	v_add_f16_e32 v20, v20, v17
	v_mov_b32_e32 v17, 0x3a95
	v_add_f16_sdwa v86, v88, v4 dst_sel:DWORD dst_unused:UNUSED_PAD src0_sel:DWORD src1_sel:WORD_1
	v_pk_fma_f16 v85, 0xb3a8bbf1, v27, v89 op_sel:[0,0,1] op_sel_hi:[1,1,0] neg_lo:[0,1,0] neg_hi:[0,1,0]
	v_add_f16_e32 v28, v28, v37
	v_pk_mul_f16 v95, 0xb9fd2fb7, v35
	v_mul_f16_sdwa v99, v55, v17 dst_sel:DWORD dst_unused:UNUSED_PAD src0_sel:WORD_1 src1_sel:DWORD
	v_fma_f16 v17, v98, 0xb9fd, -v92
	s_clause 0x1
	s_load_dwordx2 s[2:3], s[4:5], 0x20
	s_load_dwordx2 s[8:9], s[4:5], 0x8
	v_pk_mul_f16 v42, 0xbbc43b15, v54
	v_pk_fma_f16 v74, 0x3bf1b94e, v39, v95 op_sel:[0,0,1] op_sel_hi:[1,1,0]
	v_fmamk_f16 v103, v54, 0x388b, v99
	v_add_f16_e32 v37, v17, v21
	v_add_f16_e32 v17, v90, v86
	v_pk_fma_f16 v86, 0x394ebb7b, v32, v91 op_sel:[0,0,1] op_sel_hi:[1,1,0] neg_lo:[0,1,0] neg_hi:[0,1,0]
	v_mul_f16_e32 v101, 0x3a95, v55
	v_add_f16_e32 v21, v103, v25
	v_mul_f16_sdwa v103, v55, v16 dst_sel:DWORD dst_unused:UNUSED_PAD src0_sel:WORD_1 src1_sel:DWORD
	v_add_f16_e32 v16, v85, v17
	v_mul_f16_e32 v104, 0xbb7b, v55
	v_pk_fma_f16 v89, 0x3bf1b94e, v39, v95 op_sel:[0,0,1] op_sel_hi:[1,1,0] neg_lo:[0,1,0] neg_hi:[0,1,0]
	v_mul_f16_sdwa v95, v55, v22 dst_sel:DWORD dst_unused:UNUSED_PAD src0_sel:WORD_1 src1_sel:DWORD
	v_add_f16_sdwa v19, v74, v19 dst_sel:DWORD dst_unused:UNUSED_PAD src0_sel:WORD_1 src1_sel:DWORD
	v_add_f16_e32 v16, v86, v16
	v_pk_fma_f16 v76, 0x3770b3a8, v55, v42 op_sel:[0,0,1] op_sel_hi:[1,1,0]
	v_fma_f16 v25, v98, 0x388b, -v101
	v_fmamk_f16 v17, v54, 0xb5ac, v103
	v_fma_f16 v22, v98, 0xb5ac, -v104
	v_pk_fma_f16 v91, 0x3770b3a8, v55, v42 op_sel:[0,0,1] op_sel_hi:[1,1,0] neg_lo:[0,1,0] neg_hi:[0,1,0]
	v_add_f16_e32 v42, v89, v16
	v_fmamk_f16 v108, v54, 0xb9fd, v95
	v_add_f16_sdwa v19, v76, v19 dst_sel:DWORD dst_unused:UNUSED_PAD src0_sel:WORD_1 src1_sel:DWORD
	v_add_f16_e32 v25, v25, v106
	v_add_f16_e32 v16, v17, v107
	;; [unrolled: 1-line block ×5, first 2 shown]
	v_mul_lo_u16 v42, v41, 13
	s_waitcnt lgkmcnt(0)
	s_barrier
	buffer_gl0_inv
	s_and_saveexec_b32 s0, vcc_lo
	s_cbranch_execz .LBB0_7
; %bb.6:
	v_mul_f16_e32 v105, 0xb9fd, v52
	v_mul_f16_e32 v106, 0x2fb7, v58
	v_mul_f16_e32 v109, 0x388b, v65
	v_mul_f16_e32 v111, 0xb9fd, v14
	v_mul_f16_e32 v112, 0x2fb7, v18
	v_add_f16_e32 v66, v66, v105
	v_add_f16_e32 v80, v80, v106
	v_add_f16_e32 v93, v93, v109
	v_sub_f16_e32 v59, v111, v59
	v_mul_f16_e32 v110, 0xbbc4, v79
	v_add_f16_sdwa v66, v66, v4 dst_sel:DWORD dst_unused:UNUSED_PAD src0_sel:DWORD src1_sel:WORD_1
	v_sub_f16_e32 v72, v112, v72
	v_mul_f16_e32 v105, 0x388b, v52
	v_add_f16_e32 v59, v59, v4
	v_mul_f16_e32 v113, 0x2fb7, v52
	v_add_f16_e32 v66, v80, v66
	;; [unrolled: 2-line block ×4, first 2 shown]
	v_add_f16_e32 v66, v93, v66
	v_mul_f16_e32 v93, 0x388b, v26
	v_alignbit_b32 v107, v4, v4, 16
	v_add_f16_e32 v51, v51, v52
	v_add_f16_e32 v31, v31, v105
	;; [unrolled: 1-line block ×3, first 2 shown]
	v_sub_f16_e32 v83, v93, v83
	v_add_f16_e32 v97, v102, v109
	v_mul_f16_e32 v93, 0xb5ac, v58
	v_add_f16_sdwa v51, v51, v4 dst_sel:DWORD dst_unused:UNUSED_PAD src0_sel:DWORD src1_sel:WORD_1
	v_pk_add_f16 v5, v5, v107 op_sel:[0,1] op_sel_hi:[1,0]
	v_add_f16_e32 v59, v83, v59
	v_mul_f16_e32 v83, 0xbbc4, v58
	v_mul_f16_e32 v58, 0xb9fd, v58
	v_add_f16_e32 v66, v97, v66
	v_mul_f16_e32 v97, 0xbbc4, v30
	v_mul_f16_e32 v72, 0xb5ac, v98
	v_add_f16_sdwa v31, v31, v4 dst_sel:DWORD dst_unused:UNUSED_PAD src0_sel:DWORD src1_sel:WORD_1
	v_add_f16_e32 v58, v62, v58
	v_mul_f16_e32 v62, 0x3b15, v65
	v_sub_f16_e32 v94, v97, v94
	v_add_f16_e32 v36, v36, v93
	v_pk_add_f16 v5, v11, v5
	v_add_f16_e32 v51, v58, v51
	v_mul_f16_e32 v58, 0xb5ac, v54
	v_add_f16_e32 v59, v94, v59
	v_mul_f16_e32 v94, 0xbbc4, v65
	;; [unrolled: 2-line block ×3, first 2 shown]
	v_sub_f16_e32 v58, v58, v103
	v_mul_f16_e32 v103, 0x2fb7, v79
	v_mul_f16_e32 v106, 0x2fb7, v14
	;; [unrolled: 1-line block ×3, first 2 shown]
	v_add_f16_e32 v72, v104, v72
	v_add_f16_e32 v51, v62, v51
	v_mul_f16_e32 v62, 0xb9fd, v79
	v_add_f16_e32 v82, v82, v103
	v_mul_f16_e32 v103, 0xbbc4, v87
	v_add_f16_e32 v31, v36, v31
	v_add_f16_e32 v36, v47, v94
	v_pk_add_f16 v5, v12, v5
	v_mul_f16_e32 v102, 0x388b, v18
	v_add_f16_e32 v66, v72, v66
	v_mul_f16_e32 v72, 0x3b15, v35
	v_sub_f16_e32 v45, v80, v45
	v_add_f16_e32 v96, v96, v103
	v_mul_f16_e32 v103, 0x2fb7, v87
	v_add_f16_e32 v43, v43, v113
	v_sub_f16_e32 v33, v106, v33
	v_add_f16_e32 v31, v36, v31
	v_add_f16_e32 v36, v50, v62
	v_sub_f16_e32 v11, v108, v24
	v_pk_add_f16 v5, v9, v5
	v_mul_f16_e32 v52, 0x2fb7, v26
	v_sub_f16_e32 v72, v72, v100
	v_add_f16_e32 v45, v45, v4
	v_add_f16_sdwa v43, v43, v4 dst_sel:DWORD dst_unused:UNUSED_PAD src0_sel:DWORD src1_sel:WORD_1
	v_add_f16_e32 v33, v33, v4
	v_add_f16_e32 v31, v36, v31
	;; [unrolled: 1-line block ×4, first 2 shown]
	v_sub_f16_e32 v11, v102, v29
	v_pk_add_f16 v5, v10, v5
	v_bfi_b32 v10, 0xffff, v67, v88
	v_add_f16_e32 v59, v72, v59
	v_mul_f16_e32 v72, 0xb5ac, v30
	v_add_f16_e32 v51, v82, v51
	v_add_f16_e32 v9, v36, v31
	;; [unrolled: 1-line block ×3, first 2 shown]
	v_sub_f16_e32 v11, v52, v34
	v_bfi_b32 v31, 0xffff, v68, v90
	v_pk_add_f16 v5, v6, v5
	v_pk_add_f16 v6, v10, v107
	v_add_f16_e32 v51, v96, v51
	v_mul_f16_e32 v96, 0x3b15, v98
	v_add_f16_e32 v4, v11, v4
	v_sub_f16_e32 v11, v72, v46
	v_bfi_b32 v10, 0xffff, v69, v85
	v_pk_add_f16 v5, v7, v5
	v_pk_add_f16 v6, v31, v6
	v_mul_f16_e32 v82, 0xb9fd, v35
	v_add_f16_e32 v29, v81, v96
	v_add_f16_e32 v4, v11, v4
	v_bfi_b32 v11, 0xffff, v73, v86
	v_pk_add_f16 v2, v2, v5
	v_pk_add_f16 v5, v10, v6
	v_add_f16_e32 v9, v29, v9
	v_sub_f16_e32 v7, v82, v53
	v_bfi_b32 v29, 0xffff, v74, v89
	v_pk_add_f16 v2, v3, v2
	v_pk_add_f16 v3, v11, v5
	v_pk_mul_f16 v5, 0xb3a8, v15 op_sel_hi:[0,1]
	v_add_f16_e32 v58, v58, v59
	v_mul_f16_e32 v59, 0xbbc4, v54
	v_add_f16_e32 v4, v7, v4
	v_bfi_b32 v7, 0xffff, v76, v91
	v_pk_add_f16 v0, v0, v2
	v_pk_add_f16 v2, v29, v3
	v_pk_fma_f16 v3, 0xbbc4, v14, v5 op_sel:[0,0,1] op_sel_hi:[0,1,0] neg_lo:[0,0,1] neg_hi:[0,0,1]
	v_pk_fma_f16 v5, 0xbbc4, v14, v5 op_sel:[0,0,1] op_sel_hi:[0,1,0]
	v_pk_mul_f16 v10, 0x3770, v23 op_sel_hi:[0,1]
	v_mul_f16_e32 v104, 0xbbc4, v18
	v_mul_f16_e32 v97, 0xb9fd, v18
	v_sub_f16_e32 v6, v59, v71
	v_pk_add_f16 v0, v1, v0
	v_pk_add_f16 v1, v7, v2
	v_bfi_b32 v2, 0xffff, v3, v5
	v_pk_fma_f16 v7, 0x3b15, v18, v10 op_sel:[0,0,1] op_sel_hi:[0,1,0] neg_lo:[0,0,1] neg_hi:[0,0,1]
	v_pk_fma_f16 v10, 0x3b15, v18, v10 op_sel:[0,0,1] op_sel_hi:[0,1,0]
	v_pk_mul_f16 v11, 0xb94e, v27 op_sel_hi:[0,1]
	v_mul_f16_e32 v100, 0xb5ac, v26
	v_mul_f16_e32 v65, 0xb5ac, v65
	v_mul_f16_e32 v78, 0x3b15, v26
	v_sub_f16_e32 v56, v97, v56
	v_add_f16_e32 v48, v48, v83
	v_sub_f16_e32 v44, v104, v44
	v_add_f16_e32 v4, v6, v4
	v_pk_add_f16 v0, v13, v0
	v_pk_add_f16 v2, v2, v107 op_sel:[0,1] op_sel_hi:[1,0]
	v_bfi_b32 v13, 0xffff, v7, v10
	v_pk_fma_f16 v14, 0xb9fd, v26, v11 op_sel:[0,0,1] op_sel_hi:[0,1,0] neg_lo:[0,0,1] neg_hi:[0,0,1]
	v_pk_fma_f16 v11, 0xb9fd, v26, v11 op_sel:[0,0,1] op_sel_hi:[0,1,0]
	v_bfi_b32 v3, 0xffff, v5, v3
	v_mul_f16_e32 v80, 0x3b15, v30
	v_mul_f16_e32 v79, 0x3b15, v79
	;; [unrolled: 1-line block ×3, first 2 shown]
	v_add_f16_e32 v45, v56, v45
	v_sub_f16_e32 v63, v78, v63
	v_add_f16_e32 v43, v48, v43
	v_add_f16_e32 v48, v57, v65
	;; [unrolled: 1-line block ×3, first 2 shown]
	v_sub_f16_e32 v44, v100, v49
	v_alignbit_b32 v9, v9, v1, 16
	v_pack_b32_f16 v1, v4, v1
	v_pk_mul_f16 v4, 0x3a95, v32 op_sel_hi:[0,1]
	v_pk_add_f16 v2, v13, v2
	v_bfi_b32 v5, 0xffff, v14, v11
	v_pk_add_f16 v3, v3, v107 op_sel:[0,1] op_sel_hi:[1,0]
	v_bfi_b32 v7, 0xffff, v10, v7
	v_mul_f16_e32 v56, 0x388b, v35
	v_mul_f16_e32 v87, 0x388b, v87
	;; [unrolled: 1-line block ×3, first 2 shown]
	v_add_f16_e32 v45, v63, v45
	v_sub_f16_e32 v75, v97, v75
	v_add_f16_e32 v43, v48, v43
	v_add_f16_e32 v48, v64, v79
	;; [unrolled: 1-line block ×3, first 2 shown]
	v_sub_f16_e32 v44, v80, v61
	v_pk_fma_f16 v10, 0x388b, v30, v4 op_sel:[0,0,1] op_sel_hi:[0,1,0] neg_lo:[0,0,1] neg_hi:[0,0,1]
	v_pk_fma_f16 v4, 0x388b, v30, v4 op_sel:[0,0,1] op_sel_hi:[0,1,0]
	v_pk_mul_f16 v13, 0xbb7b, v39 op_sel_hi:[0,1]
	v_pk_add_f16 v2, v5, v2
	v_pk_add_f16 v3, v7, v3
	v_bfi_b32 v5, 0xffff, v11, v14
	v_mul_f16_e32 v63, 0xb9fd, v54
	v_mul_f16_e32 v109, 0xb9fd, v98
	;; [unrolled: 1-line block ×4, first 2 shown]
	v_add_f16_e32 v45, v75, v45
	v_sub_f16_e32 v75, v78, v84
	v_add_f16_e32 v43, v48, v43
	v_add_f16_e32 v48, v77, v87
	;; [unrolled: 1-line block ×3, first 2 shown]
	v_sub_f16_e32 v44, v56, v70
	v_mov_b32_e32 v6, 2
	v_bfi_b32 v7, 0xffff, v10, v4
	v_pk_fma_f16 v11, 0xb5ac, v35, v13 op_sel:[0,0,1] op_sel_hi:[0,1,0] neg_lo:[0,0,1] neg_hi:[0,0,1]
	v_pk_fma_f16 v13, 0xb5ac, v35, v13 op_sel:[0,0,1] op_sel_hi:[0,1,0]
	v_pk_mul_f16 v14, 0x3bf1, v55 op_sel_hi:[0,1]
	v_pk_add_f16 v3, v5, v3
	v_bfi_b32 v4, 0xffff, v4, v10
	v_add_f16_e32 v83, v101, v98
	v_add_f16_e32 v45, v75, v45
	v_sub_f16_e32 v57, v97, v99
	v_add_f16_e32 v43, v48, v43
	v_add_f16_e32 v47, v92, v109
	;; [unrolled: 1-line block ×3, first 2 shown]
	v_sub_f16_e32 v24, v63, v95
	v_lshlrev_b32_sdwa v6, v6, v42 dst_sel:DWORD dst_unused:UNUSED_PAD src0_sel:DWORD src1_sel:WORD_0
	v_pk_add_f16 v2, v7, v2
	v_bfi_b32 v5, 0xffff, v11, v13
	v_pk_fma_f16 v7, 0x2fb7, v54, v14 op_sel:[0,0,1] op_sel_hi:[0,1,0] neg_lo:[0,0,1] neg_hi:[0,0,1]
	v_pk_fma_f16 v10, 0x2fb7, v54, v14 op_sel:[0,0,1] op_sel_hi:[0,1,0]
	v_pk_add_f16 v3, v4, v3
	v_bfi_b32 v4, 0xffff, v13, v11
	v_add_f16_e32 v51, v83, v51
	v_add_f16_e32 v45, v57, v45
	;; [unrolled: 1-line block ×4, first 2 shown]
	ds_write_b32 v6, v0
	ds_write2_b32 v6, v1, v9 offset0:1 offset1:2
	v_pk_add_f16 v0, v5, v2
	v_bfi_b32 v1, 0xffff, v7, v10
	v_pk_add_f16 v2, v4, v3
	v_bfi_b32 v3, 0xffff, v10, v7
	v_pack_b32_f16 v4, v45, v51
	v_pack_b32_f16 v5, v24, v12
	v_pk_add_f16 v0, v1, v0
	v_pack_b32_f16 v1, v58, v66
	v_pk_add_f16 v2, v3, v2
	v_perm_b32 v3, v17, v16, 0x5040100
	v_perm_b32 v7, v37, v22, 0x5040100
	v_perm_b32 v9, v25, v21, 0x5040100
	v_perm_b32 v10, v38, v20, 0x5040100
	v_perm_b32 v11, v28, v19, 0x5040100
	ds_write2_b32 v6, v5, v4 offset0:3 offset1:4
	ds_write2_b32 v6, v1, v0 offset0:5 offset1:6
	;; [unrolled: 1-line block ×5, first 2 shown]
.LBB0_7:
	s_or_b32 exec_lo, exec_lo, s0
	v_add_nc_u32_e32 v0, 0xc00, v40
	v_add_nc_u32_e32 v1, 0x500, v40
	;; [unrolled: 1-line block ×3, first 2 shown]
	s_waitcnt lgkmcnt(0)
	s_barrier
	buffer_gl0_inv
	ds_read2_b32 v[2:3], v40 offset1:182
	ds_read2_b32 v[6:7], v0 offset0:51 offset1:233
	ds_read2_b32 v[0:1], v1 offset0:44 offset1:226
	;; [unrolled: 1-line block ×3, first 2 shown]
	v_cmp_gt_u16_e64 s0, 0x5b, v41
	s_and_saveexec_b32 s1, s0
	s_cbranch_execz .LBB0_9
; %bb.8:
	ds_read_b32 v16, v40 offset:2912
	ds_read_b32 v21, v40 offset:6188
	s_waitcnt lgkmcnt(1)
	v_lshrrev_b32_e32 v17, 16, v16
	s_waitcnt lgkmcnt(0)
	v_lshrrev_b32_e32 v25, 16, v21
.LBB0_9:
	s_or_b32 exec_lo, exec_lo, s1
	v_and_b32_e32 v9, 0xff, v41
	v_add_co_u32 v29, s1, 0xb6, v41
	v_mov_b32_e32 v12, 0x4ec5
	v_add_co_ci_u32_e64 v30, null, 0, 0, s1
	v_mul_lo_u16 v9, 0x4f, v9
	v_add_co_u32 v23, s1, 0x16c, v41
	v_mul_u32_u24_sdwa v10, v29, v12 dst_sel:DWORD dst_unused:UNUSED_PAD src0_sel:WORD_0 src1_sel:DWORD
	v_add_co_u32 v14, null, 0x222, v41
	v_lshrrev_b16 v13, 10, v9
	v_add_nc_u16 v15, v41, 0x2d8
	v_mul_u32_u24_sdwa v11, v23, v12 dst_sel:DWORD dst_unused:UNUSED_PAD src0_sel:WORD_0 src1_sel:DWORD
	v_lshrrev_b32_e32 v18, 18, v10
	v_mul_u32_u24_sdwa v26, v14, v12 dst_sel:DWORD dst_unused:UNUSED_PAD src0_sel:WORD_0 src1_sel:DWORD
	v_mul_lo_u16 v9, v13, 13
	v_mul_u32_u24_sdwa v12, v15, v12 dst_sel:DWORD dst_unused:UNUSED_PAD src0_sel:WORD_0 src1_sel:DWORD
	v_lshrrev_b32_e32 v27, 18, v11
	v_mul_lo_u16 v31, v18, 13
	v_lshrrev_b32_e32 v26, 18, v26
	v_sub_nc_u16 v9, v41, v9
	v_lshrrev_b32_e32 v12, 18, v12
	v_mul_lo_u16 v33, v27, 13
	v_sub_nc_u16 v31, v29, v31
	v_mul_lo_u16 v34, v26, 13
	v_and_b32_e32 v32, 0xff, v9
	v_mov_b32_e32 v9, 2
	v_mul_lo_u16 v35, v12, 13
	v_sub_nc_u16 v33, v23, v33
	v_sub_nc_u16 v14, v14, v34
	v_lshlrev_b32_e32 v36, 2, v32
	v_lshlrev_b32_sdwa v34, v9, v31 dst_sel:DWORD dst_unused:UNUSED_PAD src0_sel:DWORD src1_sel:WORD_0
	v_sub_nc_u16 v15, v15, v35
	v_lshlrev_b32_sdwa v35, v9, v33 dst_sel:DWORD dst_unused:UNUSED_PAD src0_sel:DWORD src1_sel:WORD_0
	v_mov_b32_e32 v43, 26
	s_clause 0x1
	global_load_dword v53, v36, s[8:9]
	global_load_dword v48, v34, s[8:9]
	v_lshlrev_b32_sdwa v36, v9, v14 dst_sel:DWORD dst_unused:UNUSED_PAD src0_sel:DWORD src1_sel:WORD_0
	v_lshlrev_b32_sdwa v34, v9, v15 dst_sel:DWORD dst_unused:UNUSED_PAD src0_sel:DWORD src1_sel:WORD_0
	s_clause 0x2
	global_load_dword v47, v35, s[8:9]
	global_load_dword v46, v36, s[8:9]
	;; [unrolled: 1-line block ×3, first 2 shown]
	s_waitcnt lgkmcnt(2)
	v_lshrrev_b32_e32 v35, 16, v6
	v_mul_u32_u24_sdwa v13, v13, v43 dst_sel:DWORD dst_unused:UNUSED_PAD src0_sel:WORD_0 src1_sel:DWORD
	v_lshrrev_b32_e32 v39, 16, v7
	v_mad_u16 v14, v26, 26, v14
	s_waitcnt lgkmcnt(0)
	v_lshrrev_b32_e32 v55, 16, v4
	v_mad_u16 v18, v18, 26, v31
	v_lshrrev_b32_e32 v57, 16, v5
	v_mad_u16 v27, v27, 26, v33
	v_mad_u16 v45, v12, 26, v15
	v_add_lshl_u32 v49, v13, v32, 2
	v_lshlrev_b32_sdwa v52, v9, v14 dst_sel:DWORD dst_unused:UNUSED_PAD src0_sel:DWORD src1_sel:WORD_0
	v_lshlrev_b32_sdwa v50, v9, v18 dst_sel:DWORD dst_unused:UNUSED_PAD src0_sel:DWORD src1_sel:WORD_0
	;; [unrolled: 1-line block ×3, first 2 shown]
	s_load_dwordx4 s[4:7], s[2:3], 0x0
	v_lshrrev_b32_e32 v34, 16, v2
	v_lshrrev_b32_e32 v36, 16, v3
	;; [unrolled: 1-line block ×4, first 2 shown]
	v_add_co_ci_u32_e64 v24, null, 0, 0, s1
	s_waitcnt vmcnt(0) lgkmcnt(0)
	s_barrier
	buffer_gl0_inv
	v_mul_f16_sdwa v12, v35, v53 dst_sel:DWORD dst_unused:UNUSED_PAD src0_sel:DWORD src1_sel:WORD_1
	v_mul_f16_sdwa v13, v6, v53 dst_sel:DWORD dst_unused:UNUSED_PAD src0_sel:DWORD src1_sel:WORD_1
	;; [unrolled: 1-line block ×9, first 2 shown]
	v_fma_f16 v6, v6, v53, -v12
	v_fmac_f16_e32 v13, v35, v53
	v_fma_f16 v7, v7, v48, -v14
	v_fmac_f16_e32 v15, v39, v48
	;; [unrolled: 2-line block ×4, first 2 shown]
	v_mul_f16_sdwa v33, v21, v44 dst_sel:DWORD dst_unused:UNUSED_PAD src0_sel:DWORD src1_sel:WORD_1
	v_fma_f16 v12, v21, v44, -v32
	v_sub_f16_e32 v6, v2, v6
	v_sub_f16_e32 v13, v34, v13
	;; [unrolled: 1-line block ×8, first 2 shown]
	v_fmac_f16_e32 v33, v25, v44
	v_sub_f16_e32 v21, v16, v12
	v_fma_f16 v2, v2, 2.0, -v6
	v_fma_f16 v12, v34, 2.0, -v13
	;; [unrolled: 1-line block ×8, first 2 shown]
	v_pack_b32_f16 v6, v6, v13
	v_pack_b32_f16 v2, v2, v12
	v_sub_f16_e32 v39, v17, v33
	v_pack_b32_f16 v7, v7, v14
	v_pack_b32_f16 v3, v3, v25
	;; [unrolled: 1-line block ×6, first 2 shown]
	ds_write2_b32 v49, v2, v6 offset1:13
	ds_write2_b32 v50, v3, v7 offset1:13
	;; [unrolled: 1-line block ×4, first 2 shown]
	s_and_saveexec_b32 s1, s0
	s_cbranch_execz .LBB0_11
; %bb.10:
	v_fma_f16 v0, v16, 2.0, -v21
	v_fma_f16 v1, v17, 2.0, -v39
	v_lshlrev_b32_sdwa v2, v9, v45 dst_sel:DWORD dst_unused:UNUSED_PAD src0_sel:DWORD src1_sel:WORD_0
	v_pack_b32_f16 v0, v0, v1
	v_perm_b32 v1, v39, v21, 0x5040100
	ds_write2_b32 v2, v0, v1 offset1:13
.LBB0_11:
	s_or_b32 exec_lo, exec_lo, s1
	v_and_b32_e32 v0, 0xff, v41
	v_lshrrev_b32_e32 v6, 19, v10
	v_lshrrev_b32_e32 v7, 19, v11
	s_waitcnt lgkmcnt(0)
	s_barrier
	v_mul_lo_u16 v0, 0x4f, v0
	buffer_gl0_inv
	v_mul_lo_u16 v1, v7, 26
	v_add_nc_u32_e32 v4, 0xb00, v40
	v_mov_b32_e32 v32, 0x4e
	v_lshrrev_b16 v10, 11, v0
	v_mul_lo_u16 v0, v6, 26
	v_sub_nc_u16 v18, v23, v1
	v_add_nc_u32_e32 v33, 0x700, v40
	v_add_nc_u32_e32 v34, 0xe80, v40
	v_mul_lo_u16 v2, v10, 26
	v_sub_nc_u16 v17, v29, v0
	v_mad_u16 v7, 0x4e, v7, v18
	v_mul_u32_u24_sdwa v10, v10, v32 dst_sel:DWORD dst_unused:UNUSED_PAD src0_sel:WORD_0 src1_sel:DWORD
	v_sub_nc_u16 v0, v41, v2
	v_lshlrev_b16 v1, 3, v17
	v_lshlrev_b16 v2, 3, v18
	v_mad_u16 v6, 0x4e, v6, v17
	v_lshlrev_b32_sdwa v54, v9, v7 dst_sel:DWORD dst_unused:UNUSED_PAD src0_sel:DWORD src1_sel:WORD_0
	v_and_b32_e32 v27, 0xff, v0
	v_and_b32_e32 v0, 0xffff, v1
	;; [unrolled: 1-line block ×3, first 2 shown]
	v_lshlrev_b32_sdwa v55, v9, v6 dst_sel:DWORD dst_unused:UNUSED_PAD src0_sel:DWORD src1_sel:WORD_0
	v_lshlrev_b32_e32 v3, 3, v27
	v_add_co_u32 v0, s1, s8, v0
	v_add_co_ci_u32_e64 v1, null, s9, 0, s1
	v_add_co_u32 v2, s1, s8, v2
	global_load_dwordx2 v[15:16], v3, s[8:9] offset:52
	v_add_co_ci_u32_e64 v3, null, s9, 0, s1
	s_clause 0x1
	global_load_dwordx2 v[13:14], v[0:1], off offset:52
	global_load_dwordx2 v[11:12], v[2:3], off offset:52
	v_add_nc_u32_e32 v2, 0x500, v40
	v_add_nc_u32_e32 v3, 0x1000, v40
	ds_read2_b32 v[0:1], v40 offset1:182
	ds_read_b32 v31, v40 offset:5824
	ds_read2_b32 v[25:26], v2 offset0:44 offset1:226
	ds_read2_b32 v[2:3], v3 offset0:68 offset1:250
	;; [unrolled: 1-line block ×3, first 2 shown]
	v_add_lshl_u32 v56, v10, v27, 2
	s_waitcnt vmcnt(0) lgkmcnt(0)
	s_barrier
	buffer_gl0_inv
	v_cmp_gt_u16_e64 s1, 52, v41
	v_lshrrev_b32_e32 v32, 16, v31
	v_lshrrev_b32_e32 v6, 16, v26
	;; [unrolled: 1-line block ×9, first 2 shown]
	v_mul_f16_sdwa v10, v6, v15 dst_sel:DWORD dst_unused:UNUSED_PAD src0_sel:DWORD src1_sel:WORD_1
	v_mul_f16_sdwa v27, v26, v15 dst_sel:DWORD dst_unused:UNUSED_PAD src0_sel:DWORD src1_sel:WORD_1
	v_mul_f16_sdwa v43, v7, v16 dst_sel:DWORD dst_unused:UNUSED_PAD src0_sel:DWORD src1_sel:WORD_1
	v_mul_f16_sdwa v57, v2, v16 dst_sel:DWORD dst_unused:UNUSED_PAD src0_sel:DWORD src1_sel:WORD_1
	v_mul_f16_sdwa v58, v9, v13 dst_sel:DWORD dst_unused:UNUSED_PAD src0_sel:DWORD src1_sel:WORD_1
	v_mul_f16_sdwa v60, v4, v13 dst_sel:DWORD dst_unused:UNUSED_PAD src0_sel:DWORD src1_sel:WORD_1
	v_mul_f16_sdwa v61, v35, v14 dst_sel:DWORD dst_unused:UNUSED_PAD src0_sel:DWORD src1_sel:WORD_1
	v_mul_f16_sdwa v62, v3, v14 dst_sel:DWORD dst_unused:UNUSED_PAD src0_sel:DWORD src1_sel:WORD_1
	v_mul_f16_sdwa v63, v36, v11 dst_sel:DWORD dst_unused:UNUSED_PAD src0_sel:DWORD src1_sel:WORD_1
	v_mul_f16_sdwa v64, v5, v11 dst_sel:DWORD dst_unused:UNUSED_PAD src0_sel:DWORD src1_sel:WORD_1
	v_mul_f16_sdwa v65, v32, v12 dst_sel:DWORD dst_unused:UNUSED_PAD src0_sel:DWORD src1_sel:WORD_1
	v_mul_f16_sdwa v66, v31, v12 dst_sel:DWORD dst_unused:UNUSED_PAD src0_sel:DWORD src1_sel:WORD_1
	v_fma_f16 v10, v26, v15, -v10
	v_fmac_f16_e32 v27, v6, v15
	v_fma_f16 v2, v2, v16, -v43
	v_fmac_f16_e32 v57, v7, v16
	;; [unrolled: 2-line block ×6, first 2 shown]
	v_add_f16_e32 v9, v10, v2
	v_sub_f16_e32 v26, v27, v57
	v_add_f16_e32 v31, v17, v27
	v_add_f16_e32 v27, v27, v57
	;; [unrolled: 1-line block ×5, first 2 shown]
	v_sub_f16_e32 v63, v64, v66
	v_add_f16_e32 v65, v59, v64
	v_add_f16_e32 v64, v64, v66
	;; [unrolled: 1-line block ×3, first 2 shown]
	v_sub_f16_e32 v10, v10, v2
	v_add_f16_e32 v32, v1, v4
	v_fma_f16 v0, -0.5, v9, v0
	v_fmac_f16_e32 v17, -0.5, v27
	v_sub_f16_e32 v36, v60, v62
	v_add_f16_e32 v43, v18, v60
	v_sub_f16_e32 v4, v4, v3
	v_add_f16_e32 v60, v25, v5
	v_fmac_f16_e32 v1, -0.5, v35
	v_fmac_f16_e32 v18, -0.5, v58
	v_sub_f16_e32 v5, v5, v6
	v_fmac_f16_e32 v25, -0.5, v61
	v_fmac_f16_e32 v59, -0.5, v64
	v_add_f16_e32 v2, v7, v2
	v_add_f16_e32 v7, v31, v57
	;; [unrolled: 1-line block ×3, first 2 shown]
	v_fmamk_f16 v32, v26, 0x3aee, v0
	v_fmac_f16_e32 v0, 0xbaee, v26
	v_fmamk_f16 v26, v10, 0xbaee, v17
	v_fmac_f16_e32 v17, 0x3aee, v10
	v_add_f16_e32 v9, v43, v62
	v_add_f16_e32 v6, v60, v6
	;; [unrolled: 1-line block ×3, first 2 shown]
	v_fmamk_f16 v10, v36, 0x3aee, v1
	v_fmamk_f16 v35, v4, 0xbaee, v18
	v_fmac_f16_e32 v1, 0xbaee, v36
	v_fmac_f16_e32 v18, 0x3aee, v4
	v_fmamk_f16 v31, v63, 0x3aee, v25
	v_fmamk_f16 v58, v5, 0xbaee, v59
	v_fmac_f16_e32 v25, 0xbaee, v63
	v_fmac_f16_e32 v59, 0x3aee, v5
	v_pack_b32_f16 v2, v2, v7
	v_pack_b32_f16 v5, v32, v26
	;; [unrolled: 1-line block ×9, first 2 shown]
	ds_write2_b32 v56, v2, v5 offset1:26
	ds_write_b32 v56, v0 offset:208
	ds_write2_b32 v55, v3, v6 offset1:26
	ds_write_b32 v55, v1 offset:208
	;; [unrolled: 2-line block ×3, first 2 shown]
	s_waitcnt lgkmcnt(0)
	s_barrier
	buffer_gl0_inv
	ds_read2_b32 v[26:27], v40 offset1:234
	ds_read2_b32 v[35:36], v33 offset0:20 offset1:254
	ds_read2_b32 v[33:34], v34 offset0:8 offset1:242
	ds_read_b32 v60, v40 offset:5616
                                        ; implicit-def: $vgpr61
                                        ; implicit-def: $vgpr62
	s_and_saveexec_b32 s2, s1
	s_cbranch_execz .LBB0_13
; %bb.12:
	v_add_nc_u32_e32 v0, 0x2c0, v40
	v_add_nc_u32_e32 v1, 0xa00, v40
	v_add_nc_u32_e32 v2, 0x1140, v40
	ds_read_b32 v61, v40 offset:6344
	ds_read2_b32 v[31:32], v0 offset0:6 offset1:240
	ds_read2_b32 v[21:22], v1 offset0:10 offset1:244
	;; [unrolled: 1-line block ×3, first 2 shown]
	s_waitcnt lgkmcnt(3)
	v_lshrrev_b32_e32 v62, 16, v61
	s_waitcnt lgkmcnt(2)
	v_lshrrev_b32_e32 v58, 16, v31
	v_lshrrev_b32_e32 v59, 16, v32
	s_waitcnt lgkmcnt(1)
	v_lshrrev_b32_e32 v39, 16, v21
	;; [unrolled: 3-line block ×3, first 2 shown]
	v_lshrrev_b32_e32 v38, 16, v20
	v_mov_b32_e32 v25, v32
.LBB0_13:
	s_or_b32 exec_lo, exec_lo, s2
	v_lshrrev_b16 v0, 1, v29
	v_mov_b32_e32 v1, 0x6907
	v_mov_b32_e32 v63, 0x222
	s_waitcnt lgkmcnt(2)
	v_lshrrev_b32_e32 v64, 16, v35
	s_waitcnt lgkmcnt(1)
	v_lshrrev_b32_e32 v65, 16, v33
	v_lshrrev_b32_e32 v66, 16, v34
	v_mul_u32_u24_sdwa v0, v0, v1 dst_sel:DWORD dst_unused:UNUSED_PAD src0_sel:WORD_0 src1_sel:DWORD
	v_lshrrev_b16 v1, 1, v41
	s_waitcnt lgkmcnt(0)
	v_lshrrev_b32_e32 v67, 16, v60
	v_lshrrev_b32_e32 v0, 20, v0
	v_and_b32_e32 v1, 0x7f, v1
	v_mul_lo_u16 v0, 0x4e, v0
	v_mul_lo_u16 v1, 0xd3, v1
	v_sub_nc_u16 v43, v29, v0
	v_lshrrev_b16 v32, 13, v1
	v_mul_lo_u16 v0, v43, 24
	v_mul_lo_u16 v1, 0x4e, v32
	v_mul_u32_u24_sdwa v32, v32, v63 dst_sel:DWORD dst_unused:UNUSED_PAD src0_sel:WORD_0 src1_sel:DWORD
	v_lshrrev_b32_e32 v63, 16, v27
	v_and_b32_e32 v0, 0xffff, v0
	v_sub_nc_u16 v1, v41, v1
	v_add_co_u32 v4, s2, s8, v0
	v_and_b32_e32 v57, 0xff, v1
	v_add_co_ci_u32_e64 v5, null, s9, 0, s2
	v_mad_u64_u32 v[17:18], null, v57, 24, s[8:9]
	global_load_dwordx4 v[0:3], v[4:5], off offset:260
	v_add_lshl_u32 v57, v32, v57, 2
	s_clause 0x2
	global_load_dwordx2 v[9:10], v[4:5], off offset:276
	global_load_dwordx4 v[4:7], v[17:18], off offset:260
	global_load_dwordx2 v[17:18], v[17:18], off offset:276
	v_lshrrev_b32_e32 v32, 16, v36
	v_add_nc_u32_e32 v68, 0x400, v57
	s_waitcnt vmcnt(0)
	s_barrier
	buffer_gl0_inv
	v_mul_f16_sdwa v69, v59, v0 dst_sel:DWORD dst_unused:UNUSED_PAD src0_sel:DWORD src1_sel:WORD_1
	v_mul_f16_sdwa v70, v25, v0 dst_sel:DWORD dst_unused:UNUSED_PAD src0_sel:DWORD src1_sel:WORD_1
	;; [unrolled: 1-line block ×24, first 2 shown]
	v_fma_f16 v25, v25, v0, -v69
	v_fmac_f16_e32 v70, v59, v0
	v_fma_f16 v21, v21, v1, -v71
	v_fmac_f16_e32 v72, v39, v1
	;; [unrolled: 2-line block ×8, first 2 shown]
	v_fmac_f16_e32 v86, v32, v6
	v_fma_f16 v32, v33, v7, -v87
	v_fma_f16 v33, v34, v17, -v89
	v_fmac_f16_e32 v90, v66, v17
	v_fma_f16 v34, v60, v18, -v91
	v_fmac_f16_e32 v92, v67, v18
	;; [unrolled: 2-line block ×3, first 2 shown]
	v_add_f16_e32 v37, v25, v28
	v_add_f16_e32 v38, v70, v80
	v_sub_f16_e32 v25, v25, v28
	v_sub_f16_e32 v28, v70, v80
	v_add_f16_e32 v39, v21, v20
	v_add_f16_e32 v59, v72, v78
	v_sub_f16_e32 v20, v21, v20
	v_sub_f16_e32 v21, v72, v78
	;; [unrolled: 4-line block ×3, first 2 shown]
	v_add_f16_e32 v62, v27, v34
	v_add_f16_e32 v63, v82, v92
	;; [unrolled: 1-line block ×4, first 2 shown]
	v_sub_f16_e32 v27, v27, v34
	v_sub_f16_e32 v34, v82, v92
	;; [unrolled: 1-line block ×4, first 2 shown]
	v_add_f16_e32 v66, v36, v32
	v_add_f16_e32 v67, v86, v88
	v_sub_f16_e32 v32, v32, v36
	v_sub_f16_e32 v36, v88, v86
	v_add_f16_e32 v69, v39, v37
	v_add_f16_e32 v70, v59, v38
	v_sub_f16_e32 v71, v39, v37
	v_sub_f16_e32 v72, v59, v38
	;; [unrolled: 1-line block ×6, first 2 shown]
	v_add_f16_e32 v73, v19, v20
	v_add_f16_e32 v74, v22, v21
	v_sub_f16_e32 v75, v19, v20
	v_sub_f16_e32 v76, v22, v21
	;; [unrolled: 1-line block ×5, first 2 shown]
	v_add_f16_e32 v19, v64, v62
	v_add_f16_e32 v20, v65, v63
	v_sub_f16_e32 v78, v28, v22
	v_sub_f16_e32 v81, v64, v62
	;; [unrolled: 1-line block ×7, first 2 shown]
	v_add_f16_e32 v64, v32, v33
	v_add_f16_e32 v65, v36, v35
	v_sub_f16_e32 v83, v32, v33
	v_sub_f16_e32 v84, v36, v35
	;; [unrolled: 1-line block ×4, first 2 shown]
	v_add_f16_e32 v60, v60, v69
	v_add_f16_e32 v61, v61, v70
	;; [unrolled: 1-line block ×4, first 2 shown]
	v_mul_f16_e32 v37, 0x3a52, v37
	v_mul_f16_e32 v38, 0x3a52, v38
	;; [unrolled: 1-line block ×8, first 2 shown]
	v_add_f16_e32 v66, v66, v19
	v_add_f16_e32 v67, v67, v20
	v_sub_f16_e32 v32, v27, v32
	v_sub_f16_e32 v36, v34, v36
	v_add_f16_e32 v27, v64, v27
	v_add_f16_e32 v34, v65, v34
	v_mul_f16_e32 v64, 0x3a52, v21
	v_mul_f16_e32 v65, 0x3a52, v22
	;; [unrolled: 1-line block ×8, first 2 shown]
	v_add_f16_e32 v19, v31, v60
	v_add_f16_e32 v20, v58, v61
	v_fmamk_f16 v31, v39, 0x2b26, v37
	v_fmamk_f16 v39, v59, 0x2b26, v38
	v_fma_f16 v58, v71, 0x39e0, -v69
	v_fma_f16 v59, v72, 0x39e0, -v70
	;; [unrolled: 1-line block ×4, first 2 shown]
	v_fmamk_f16 v21, v77, 0x3574, v73
	v_fmamk_f16 v22, v78, 0x3574, v74
	v_fma_f16 v69, v79, 0x3b00, -v73
	v_fma_f16 v70, v80, 0x3b00, -v74
	;; [unrolled: 1-line block ×4, first 2 shown]
	v_add_f16_e32 v73, v26, v66
	v_add_f16_sdwa v26, v26, v67 dst_sel:DWORD dst_unused:UNUSED_PAD src0_sel:WORD_1 src1_sel:DWORD
	v_fmamk_f16 v62, v62, 0x2b26, v64
	v_fmamk_f16 v63, v63, 0x2b26, v65
	v_fma_f16 v74, v81, 0x39e0, -v85
	v_fma_f16 v75, v82, 0x39e0, -v86
	;; [unrolled: 1-line block ×3, first 2 shown]
	v_fmamk_f16 v76, v32, 0x3574, v83
	v_fmamk_f16 v77, v36, 0x3574, v84
	v_fma_f16 v33, v33, 0x3b00, -v83
	v_fma_f16 v35, v35, 0x3b00, -v84
	v_fma_f16 v32, v32, 0xb574, -v87
	v_fma_f16 v36, v36, 0xb574, -v88
	v_fmamk_f16 v60, v60, 0xbcab, v19
	v_fmamk_f16 v61, v61, 0xbcab, v20
	v_fmac_f16_e32 v21, 0x370e, v25
	v_fmac_f16_e32 v22, 0x370e, v28
	;; [unrolled: 1-line block ×6, first 2 shown]
	v_fmamk_f16 v25, v66, 0xbcab, v73
	v_fmamk_f16 v28, v67, 0xbcab, v26
	v_fma_f16 v64, v81, 0xb9e0, -v64
	v_fmac_f16_e32 v76, 0x370e, v27
	v_fmac_f16_e32 v77, 0x370e, v34
	;; [unrolled: 1-line block ×6, first 2 shown]
	v_pack_b32_f16 v34, v73, v26
	v_add_f16_e32 v27, v31, v60
	v_add_f16_e32 v31, v39, v61
	;; [unrolled: 1-line block ×13, first 2 shown]
	v_sub_f16_e32 v64, v38, v71
	v_sub_f16_e32 v25, v26, v70
	v_add_f16_e32 v63, v69, v39
	v_add_f16_e32 v26, v70, v26
	v_sub_f16_e32 v62, v39, v69
	v_sub_f16_e32 v60, v37, v72
	v_add_f16_e32 v61, v71, v38
	v_add_f16_e32 v37, v77, v59
	v_sub_f16_e32 v38, v66, v76
	v_sub_f16_e32 v69, v65, v32
	;; [unrolled: 1-line block ×3, first 2 shown]
	v_add_f16_e32 v71, v33, v73
	v_add_f16_e32 v35, v35, v67
	v_sub_f16_e32 v33, v73, v33
	v_add_f16_e32 v32, v32, v65
	v_sub_f16_e32 v59, v59, v77
	v_add_f16_e32 v65, v76, v66
	v_add_f16_e32 v39, v36, v74
	v_sub_f16_e32 v36, v74, v36
	v_sub_f16_e32 v58, v27, v22
	v_pack_b32_f16 v37, v37, v38
	v_pack_b32_f16 v33, v35, v33
	;; [unrolled: 1-line block ×3, first 2 shown]
	v_add_f16_e32 v59, v21, v31
	v_pack_b32_f16 v38, v39, v69
	v_pack_b32_f16 v39, v70, v71
	;; [unrolled: 1-line block ×3, first 2 shown]
	ds_write2_b32 v57, v34, v37 offset1:78
	ds_write2_b32 v57, v38, v39 offset0:156 offset1:234
	ds_write2_b32 v68, v33, v32 offset0:56 offset1:134
	ds_write_b32 v57, v35 offset:1872
	s_and_saveexec_b32 s2, s1
	s_cbranch_execz .LBB0_15
; %bb.14:
	v_mov_b32_e32 v32, 2
	v_sub_f16_e32 v21, v31, v21
	v_add_f16_e32 v22, v22, v27
	v_perm_b32 v19, v20, v19, 0x5040100
	v_perm_b32 v20, v64, v28, 0x5040100
	v_lshlrev_b32_sdwa v27, v32, v43 dst_sel:DWORD dst_unused:UNUSED_PAD src0_sel:DWORD src1_sel:WORD_0
	v_perm_b32 v31, v63, v25, 0x5040100
	v_pack_b32_f16 v21, v22, v21
	v_perm_b32 v32, v62, v26, 0x5040100
	v_perm_b32 v33, v61, v60, 0x5040100
	v_add_nc_u32_e32 v22, 0x1000, v27
	v_add_nc_u32_e32 v34, 0x1200, v27
	;; [unrolled: 1-line block ×3, first 2 shown]
	v_perm_b32 v36, v59, v58, 0x5040100
	ds_write2_b32 v22, v19, v21 offset0:68 offset1:146
	ds_write2_b32 v34, v20, v31 offset0:96 offset1:174
	;; [unrolled: 1-line block ×3, first 2 shown]
	ds_write_b32 v27, v36 offset:6240
.LBB0_15:
	s_or_b32 exec_lo, exec_lo, s2
	v_lshlrev_b32_e32 v19, 3, v41
	v_lshlrev_b64 v[29:30], 3, v[29:30]
	v_lshlrev_b64 v[23:24], 3, v[23:24]
	s_waitcnt lgkmcnt(0)
	s_barrier
	v_add_co_u32 v19, s2, s8, v19
	v_add_co_ci_u32_e64 v20, null, s9, 0, s2
	buffer_gl0_inv
	v_add_co_u32 v19, s2, 0x800, v19
	v_add_co_ci_u32_e64 v20, s2, 0, v20, s2
	v_add_nc_u32_e32 v69, 0x500, v40
	v_add_nc_u32_e32 v27, 0x1000, v40
	;; [unrolled: 1-line block ×3, first 2 shown]
	global_load_dwordx2 v[21:22], v[19:20], off offset:84
	v_add_co_u32 v19, s2, s8, v29
	v_add_co_ci_u32_e64 v20, s2, s9, v30, s2
	v_add_co_u32 v23, s2, s8, v23
	v_add_co_ci_u32_e64 v24, s2, s9, v24, s2
	;; [unrolled: 2-line block ×4, first 2 shown]
	s_clause 0x1
	global_load_dwordx2 v[23:24], v[19:20], off offset:84
	global_load_dwordx2 v[19:20], v[29:30], off offset:84
	ds_read2_b32 v[29:30], v40 offset1:182
	ds_read_b32 v37, v40 offset:5824
	ds_read2_b32 v[31:32], v69 offset0:44 offset1:226
	ds_read2_b32 v[33:34], v27 offset0:68 offset1:250
	;; [unrolled: 1-line block ×3, first 2 shown]
	s_waitcnt lgkmcnt(3)
	v_lshrrev_b32_e32 v38, 16, v37
	s_waitcnt lgkmcnt(2)
	v_lshrrev_b32_e32 v39, 16, v32
	;; [unrolled: 2-line block ×4, first 2 shown]
	v_lshrrev_b32_e32 v72, 16, v34
	v_lshrrev_b32_e32 v73, 16, v36
	;; [unrolled: 1-line block ×5, first 2 shown]
	s_waitcnt vmcnt(2)
	v_mul_f16_sdwa v74, v39, v21 dst_sel:DWORD dst_unused:UNUSED_PAD src0_sel:DWORD src1_sel:WORD_1
	v_mul_f16_sdwa v75, v32, v21 dst_sel:DWORD dst_unused:UNUSED_PAD src0_sel:DWORD src1_sel:WORD_1
	;; [unrolled: 1-line block ×4, first 2 shown]
	v_fma_f16 v32, v32, v21, -v74
	v_fmac_f16_e32 v75, v39, v21
	v_fma_f16 v33, v33, v22, -v76
	v_fmac_f16_e32 v77, v68, v22
	v_add_f16_e32 v68, v67, v75
	v_add_f16_e32 v39, v32, v33
	v_sub_f16_e32 v74, v32, v33
	v_add_f16_e32 v68, v68, v77
	s_waitcnt vmcnt(1)
	v_mul_f16_sdwa v78, v71, v23 dst_sel:DWORD dst_unused:UNUSED_PAD src0_sel:DWORD src1_sel:WORD_1
	v_mul_f16_sdwa v79, v35, v23 dst_sel:DWORD dst_unused:UNUSED_PAD src0_sel:DWORD src1_sel:WORD_1
	;; [unrolled: 1-line block ×4, first 2 shown]
	s_waitcnt vmcnt(0)
	v_mul_f16_sdwa v82, v73, v19 dst_sel:DWORD dst_unused:UNUSED_PAD src0_sel:DWORD src1_sel:WORD_1
	v_mul_f16_sdwa v83, v36, v19 dst_sel:DWORD dst_unused:UNUSED_PAD src0_sel:DWORD src1_sel:WORD_1
	;; [unrolled: 1-line block ×4, first 2 shown]
	v_fma_f16 v35, v35, v23, -v78
	v_fmac_f16_e32 v79, v71, v23
	v_fma_f16 v34, v34, v24, -v80
	v_fmac_f16_e32 v81, v72, v24
	;; [unrolled: 2-line block ×4, first 2 shown]
	v_add_f16_e32 v38, v29, v32
	v_add_f16_e32 v71, v75, v77
	v_sub_f16_e32 v73, v75, v77
	v_add_f16_e32 v75, v35, v34
	v_sub_f16_e32 v78, v79, v81
	v_add_f16_e32 v76, v66, v79
	v_add_f16_e32 v79, v79, v81
	;; [unrolled: 1-line block ×3, first 2 shown]
	v_sub_f16_e32 v84, v83, v85
	v_add_f16_e32 v86, v65, v83
	v_add_f16_e32 v83, v83, v85
	;; [unrolled: 1-line block ×5, first 2 shown]
	v_fma_f16 v38, -0.5, v39, v29
	v_fmac_f16_e32 v67, -0.5, v71
	v_sub_f16_e32 v35, v35, v34
	v_fmac_f16_e32 v30, -0.5, v75
	v_fmac_f16_e32 v66, -0.5, v79
	v_sub_f16_e32 v87, v36, v37
	v_fmac_f16_e32 v31, -0.5, v82
	v_fmac_f16_e32 v65, -0.5, v83
	v_add_f16_e32 v39, v72, v34
	v_add_f16_e32 v72, v76, v81
	;; [unrolled: 1-line block ×4, first 2 shown]
	v_fmamk_f16 v33, v73, 0x3aee, v38
	v_fmamk_f16 v76, v74, 0xbaee, v67
	v_fmac_f16_e32 v38, 0xbaee, v73
	v_fmac_f16_e32 v67, 0x3aee, v74
	v_fmamk_f16 v29, v78, 0x3aee, v30
	v_fmac_f16_e32 v30, 0xbaee, v78
	v_fmamk_f16 v75, v35, 0xbaee, v66
	v_fmac_f16_e32 v66, 0x3aee, v35
	v_fmamk_f16 v37, v84, 0x3aee, v31
	v_fmamk_f16 v73, v87, 0xbaee, v65
	v_fmac_f16_e32 v31, 0xbaee, v84
	v_fmac_f16_e32 v65, 0x3aee, v87
	v_pack_b32_f16 v34, v32, v68
	v_pack_b32_f16 v35, v39, v72
	;; [unrolled: 1-line block ×9, first 2 shown]
	ds_write2_b32 v40, v34, v35 offset1:182
	ds_write2_b32 v69, v74, v77 offset0:44 offset1:226
	ds_write2_b32 v27, v78, v80 offset0:68 offset1:250
	;; [unrolled: 1-line block ×3, first 2 shown]
	ds_write_b32 v40, v82 offset:5824
	s_waitcnt lgkmcnt(0)
	s_barrier
	buffer_gl0_inv
	s_and_saveexec_b32 s3, vcc_lo
	s_cbranch_execz .LBB0_17
; %bb.16:
	v_add_co_u32 v74, s2, s14, v40
	v_add_co_ci_u32_e64 v77, null, s15, 0, s2
	v_add_nc_u32_e32 v96, 0x400, v40
	v_add_co_u32 v34, s2, 0x1800, v74
	v_add_co_ci_u32_e64 v35, s2, 0, v77, s2
	v_add_nc_u32_e32 v97, 0x800, v40
	v_add_nc_u32_e32 v98, 0xc00, v40
	;; [unrolled: 1-line block ×3, first 2 shown]
	global_load_dword v78, v[34:35], off offset:408
	v_add_co_u32 v34, s2, 0x1998, v74
	v_add_co_ci_u32_e64 v35, s2, 0, v77, s2
	v_add_co_u32 v69, s2, 0x2000, v74
	v_add_co_ci_u32_e64 v70, s2, 0, v77, s2
	s_clause 0x6
	global_load_dword v85, v[34:35], off offset:504
	global_load_dword v86, v[34:35], off offset:1008
	;; [unrolled: 1-line block ×7, first 2 shown]
	v_add_co_u32 v34, s2, 0x2800, v74
	v_add_co_ci_u32_e64 v35, s2, 0, v77, s2
	v_add_co_u32 v69, s2, 0x3000, v74
	v_add_co_ci_u32_e64 v70, s2, 0, v77, s2
	s_clause 0x4
	global_load_dword v92, v[34:35], off offset:344
	global_load_dword v93, v[34:35], off offset:848
	;; [unrolled: 1-line block ×5, first 2 shown]
	ds_read_b32 v34, v40
	s_waitcnt lgkmcnt(0)
	v_lshrrev_b32_e32 v35, 16, v34
	s_waitcnt vmcnt(12)
	v_mul_f16_sdwa v69, v35, v78 dst_sel:DWORD dst_unused:UNUSED_PAD src0_sel:DWORD src1_sel:WORD_1
	v_mul_f16_sdwa v70, v34, v78 dst_sel:DWORD dst_unused:UNUSED_PAD src0_sel:DWORD src1_sel:WORD_1
	v_fma_f16 v34, v34, v78, -v69
	v_fmac_f16_e32 v70, v35, v78
	v_pack_b32_f16 v34, v34, v70
	ds_write_b32 v40, v34
	ds_read2_b32 v[34:35], v40 offset0:126 offset1:252
	ds_read2_b32 v[69:70], v96 offset0:122 offset1:248
	;; [unrolled: 1-line block ×6, first 2 shown]
	s_waitcnt lgkmcnt(5)
	v_lshrrev_b32_e32 v100, 16, v34
	s_waitcnt vmcnt(11)
	v_mul_f16_sdwa v101, v34, v85 dst_sel:DWORD dst_unused:UNUSED_PAD src0_sel:DWORD src1_sel:WORD_1
	v_lshrrev_b32_e32 v102, 16, v35
	s_waitcnt vmcnt(10)
	v_mul_f16_sdwa v103, v35, v86 dst_sel:DWORD dst_unused:UNUSED_PAD src0_sel:DWORD src1_sel:WORD_1
	s_waitcnt lgkmcnt(4)
	v_lshrrev_b32_e32 v104, 16, v69
	s_waitcnt vmcnt(9)
	v_mul_f16_sdwa v105, v69, v87 dst_sel:DWORD dst_unused:UNUSED_PAD src0_sel:DWORD src1_sel:WORD_1
	v_lshrrev_b32_e32 v106, 16, v70
	s_waitcnt vmcnt(5)
	v_mul_f16_sdwa v107, v70, v91 dst_sel:DWORD dst_unused:UNUSED_PAD src0_sel:DWORD src1_sel:WORD_1
	s_waitcnt lgkmcnt(3)
	v_lshrrev_b32_e32 v108, 16, v77
	v_mul_f16_sdwa v109, v77, v88 dst_sel:DWORD dst_unused:UNUSED_PAD src0_sel:DWORD src1_sel:WORD_1
	v_lshrrev_b32_e32 v110, 16, v78
	v_mul_f16_sdwa v111, v78, v89 dst_sel:DWORD dst_unused:UNUSED_PAD src0_sel:DWORD src1_sel:WORD_1
	s_waitcnt lgkmcnt(2)
	v_lshrrev_b32_e32 v112, 16, v79
	v_mul_f16_sdwa v113, v79, v90 dst_sel:DWORD dst_unused:UNUSED_PAD src0_sel:DWORD src1_sel:WORD_1
	v_lshrrev_b32_e32 v114, 16, v80
	s_waitcnt vmcnt(4)
	v_mul_f16_sdwa v115, v80, v92 dst_sel:DWORD dst_unused:UNUSED_PAD src0_sel:DWORD src1_sel:WORD_1
	s_waitcnt lgkmcnt(1)
	v_lshrrev_b32_e32 v116, 16, v81
	s_waitcnt vmcnt(3)
	v_mul_f16_sdwa v117, v81, v93 dst_sel:DWORD dst_unused:UNUSED_PAD src0_sel:DWORD src1_sel:WORD_1
	v_lshrrev_b32_e32 v118, 16, v82
	s_waitcnt vmcnt(2)
	v_mul_f16_sdwa v119, v82, v74 dst_sel:DWORD dst_unused:UNUSED_PAD src0_sel:DWORD src1_sel:WORD_1
	s_waitcnt lgkmcnt(0)
	v_lshrrev_b32_e32 v120, 16, v83
	s_waitcnt vmcnt(1)
	v_mul_f16_sdwa v121, v83, v94 dst_sel:DWORD dst_unused:UNUSED_PAD src0_sel:DWORD src1_sel:WORD_1
	v_lshrrev_b32_e32 v122, 16, v84
	v_mul_f16_sdwa v124, v100, v85 dst_sel:DWORD dst_unused:UNUSED_PAD src0_sel:DWORD src1_sel:WORD_1
	v_fmac_f16_e32 v101, v100, v85
	v_mul_f16_sdwa v100, v102, v86 dst_sel:DWORD dst_unused:UNUSED_PAD src0_sel:DWORD src1_sel:WORD_1
	v_fmac_f16_e32 v103, v102, v86
	;; [unrolled: 2-line block ×9, first 2 shown]
	v_mul_f16_sdwa v116, v118, v74 dst_sel:DWORD dst_unused:UNUSED_PAD src0_sel:DWORD src1_sel:WORD_1
	s_waitcnt vmcnt(0)
	v_mul_f16_sdwa v123, v84, v95 dst_sel:DWORD dst_unused:UNUSED_PAD src0_sel:DWORD src1_sel:WORD_1
	v_fmac_f16_e32 v119, v118, v74
	v_mul_f16_sdwa v118, v120, v94 dst_sel:DWORD dst_unused:UNUSED_PAD src0_sel:DWORD src1_sel:WORD_1
	v_fmac_f16_e32 v121, v120, v94
	v_mul_f16_sdwa v120, v122, v95 dst_sel:DWORD dst_unused:UNUSED_PAD src0_sel:DWORD src1_sel:WORD_1
	v_fma_f16 v34, v34, v85, -v124
	v_fma_f16 v35, v35, v86, -v100
	;; [unrolled: 1-line block ×10, first 2 shown]
	v_fmac_f16_e32 v123, v122, v95
	v_fma_f16 v82, v83, v94, -v118
	v_fma_f16 v83, v84, v95, -v120
	v_pack_b32_f16 v34, v34, v101
	v_pack_b32_f16 v35, v35, v103
	;; [unrolled: 1-line block ×12, first 2 shown]
	ds_write2_b32 v40, v34, v35 offset0:126 offset1:252
	ds_write2_b32 v96, v69, v70 offset0:122 offset1:248
	;; [unrolled: 1-line block ×6, first 2 shown]
.LBB0_17:
	s_or_b32 exec_lo, exec_lo, s3
	s_waitcnt lgkmcnt(0)
	s_barrier
	buffer_gl0_inv
	s_and_saveexec_b32 s2, vcc_lo
	s_cbranch_execz .LBB0_19
; %bb.18:
	v_add_nc_u32_e32 v25, 0x200, v40
	v_add_nc_u32_e32 v26, 0x600, v40
	;; [unrolled: 1-line block ×3, first 2 shown]
	ds_read2_b32 v[32:33], v40 offset1:126
	ds_read_b32 v60, v40 offset:6048
	ds_read2_b32 v[38:39], v25 offset0:124 offset1:250
	v_add_nc_u32_e32 v25, 0xe00, v40
	ds_read2_b32 v[29:30], v26 offset0:120 offset1:246
	v_add_nc_u32_e32 v26, 0x1200, v40
	ds_read2_b32 v[36:37], v27 offset0:116 offset1:242
	ds_read2_b32 v[27:28], v25 offset0:112 offset1:238
	ds_read2_b32 v[25:26], v26 offset0:108 offset1:234
	s_waitcnt lgkmcnt(6)
	v_lshrrev_b32_e32 v68, 16, v32
	v_lshrrev_b32_e32 v76, 16, v33
	s_waitcnt lgkmcnt(5)
	v_lshrrev_b32_e32 v61, 16, v60
	s_waitcnt lgkmcnt(4)
	v_lshrrev_b32_e32 v67, 16, v38
	v_lshrrev_b32_e32 v72, 16, v39
	s_waitcnt lgkmcnt(3)
	v_lshrrev_b32_e32 v75, 16, v29
	;; [unrolled: 3-line block ×5, first 2 shown]
	v_lshrrev_b32_e32 v62, 16, v26
	v_mov_b32_e32 v31, v27
.LBB0_19:
	s_or_b32 exec_lo, exec_lo, s2
	v_sub_f16_e32 v126, v76, v61
	v_add_f16_e32 v120, v61, v76
	v_add_f16_e32 v107, v60, v33
	v_sub_f16_e32 v133, v33, v60
	v_sub_f16_e32 v135, v67, v62
	v_mul_f16_e32 v95, 0xbb7b, v126
	v_mul_f16_e32 v100, 0xb5ac, v120
	;; [unrolled: 1-line block ×5, first 2 shown]
	v_fma_f16 v79, v107, 0xb5ac, -v95
	v_fmamk_f16 v80, v133, 0xbb7b, v100
	v_add_f16_e32 v130, v62, v67
	v_mul_f16_e32 v84, 0x388b, v120
	v_fma_f16 v27, v107, 0x3b15, -v77
	v_fmamk_f16 v34, v133, 0xb770, v78
	v_fma_f16 v35, v107, 0x388b, -v81
	v_mul_f16_e32 v87, 0xbbf1, v126
	v_mul_f16_e32 v91, 0x2fb7, v120
	v_add_f16_e32 v82, v32, v79
	v_add_f16_e32 v83, v68, v80
	v_add_f16_e32 v116, v26, v38
	v_sub_f16_e32 v144, v38, v26
	v_mul_f16_e32 v79, 0xba95, v135
	v_mul_f16_e32 v80, 0x388b, v130
	;; [unrolled: 1-line block ×3, first 2 shown]
	v_add_f16_e32 v27, v32, v27
	v_add_f16_e32 v34, v68, v34
	;; [unrolled: 1-line block ×3, first 2 shown]
	v_fmamk_f16 v69, v133, 0xba95, v84
	v_fma_f16 v70, v107, 0x2fb7, -v87
	v_fmamk_f16 v74, v133, 0xbbf1, v91
	v_mul_f16_e32 v109, 0xb94e, v126
	v_fma_f16 v89, v116, 0x388b, -v79
	v_fmamk_f16 v90, v144, 0xba95, v80
	v_fma_f16 v93, v116, 0xb5ac, -v88
	v_mul_f16_e32 v92, 0xb5ac, v130
	v_mul_f16_e32 v96, 0xb3a8, v135
	;; [unrolled: 1-line block ×5, first 2 shown]
	v_add_f16_e32 v69, v68, v69
	v_add_f16_e32 v70, v32, v70
	;; [unrolled: 1-line block ×3, first 2 shown]
	v_fma_f16 v85, v107, 0xb9fd, -v109
	v_add_f16_e32 v27, v89, v27
	v_add_f16_e32 v34, v90, v34
	;; [unrolled: 1-line block ×3, first 2 shown]
	v_fmamk_f16 v89, v144, 0xbb7b, v92
	v_fma_f16 v90, v116, 0xbbc4, -v96
	v_fmamk_f16 v93, v144, 0xb3a8, v103
	v_fma_f16 v94, v116, 0xb9fd, -v105
	v_fmamk_f16 v97, v144, 0x394e, v106
	v_mul_f16_e32 v121, 0x3bf1, v135
	v_sub_f16_e32 v146, v72, v63
	v_add_f16_e32 v138, v63, v72
	v_mul_f16_e32 v117, 0xb9fd, v120
	v_add_f16_e32 v85, v32, v85
	v_add_f16_e32 v69, v89, v69
	;; [unrolled: 1-line block ×7, first 2 shown]
	v_sub_f16_e32 v153, v39, v25
	v_mul_f16_e32 v82, 0xbbf1, v146
	v_mul_f16_e32 v83, 0x2fb7, v138
	v_fma_f16 v93, v116, 0x2fb7, -v121
	v_mul_f16_e32 v97, 0xb3a8, v146
	v_fmamk_f16 v86, v133, 0xb94e, v117
	v_mul_f16_e32 v128, 0x2fb7, v130
	v_fma_f16 v98, v124, 0x2fb7, -v82
	v_fmamk_f16 v99, v153, 0xbbf1, v83
	v_add_f16_e32 v85, v93, v85
	v_fma_f16 v93, v124, 0xbbc4, -v97
	v_mul_f16_e32 v101, 0xbbc4, v138
	v_mul_f16_e32 v114, 0xb5ac, v138
	;; [unrolled: 1-line block ×3, first 2 shown]
	v_add_f16_e32 v86, v68, v86
	v_fmamk_f16 v94, v144, 0x3bf1, v128
	v_add_f16_e32 v27, v98, v27
	v_add_f16_e32 v34, v99, v34
	;; [unrolled: 1-line block ×3, first 2 shown]
	v_mul_f16_e32 v104, 0x3b7b, v146
	v_mul_f16_e32 v119, 0x3b15, v138
	v_fmamk_f16 v93, v153, 0xb3a8, v101
	v_fmamk_f16 v98, v153, 0x3b7b, v114
	v_fma_f16 v99, v124, 0x3b15, -v118
	v_mul_f16_e32 v132, 0xba95, v146
	v_sub_f16_e32 v151, v75, v64
	v_add_f16_e32 v86, v94, v86
	v_fma_f16 v94, v124, 0xb5ac, -v104
	v_fmamk_f16 v102, v153, 0x3770, v119
	v_add_f16_e32 v69, v93, v69
	v_add_f16_e32 v74, v98, v74
	;; [unrolled: 1-line block ×5, first 2 shown]
	v_mul_f16_e32 v89, 0xbb7b, v151
	v_fma_f16 v99, v124, 0x388b, -v132
	v_mul_f16_e32 v98, 0x394e, v151
	v_add_f16_e32 v70, v94, v70
	v_add_f16_e32 v94, v102, v90
	v_sub_f16_e32 v158, v29, v28
	v_mul_f16_e32 v90, 0xb5ac, v149
	v_fma_f16 v108, v136, 0xb5ac, -v89
	v_add_f16_e32 v85, v99, v85
	v_fma_f16 v99, v136, 0xb9fd, -v98
	v_mul_f16_e32 v111, 0xb9fd, v149
	v_mul_f16_e32 v125, 0x3b15, v149
	v_fmamk_f16 v110, v158, 0xbb7b, v90
	v_add_f16_e32 v27, v108, v27
	v_add_f16_e32 v35, v99, v35
	v_mul_f16_e32 v129, 0xbbf1, v151
	v_fmamk_f16 v99, v158, 0x394e, v111
	v_mul_f16_e32 v131, 0x2fb7, v149
	v_fmamk_f16 v108, v158, 0x3770, v125
	v_sub_f16_e32 v159, v66, v65
	v_mul_f16_e32 v137, 0x388b, v138
	v_add_f16_e32 v34, v110, v34
	v_fma_f16 v110, v136, 0x2fb7, -v129
	v_add_f16_e32 v69, v99, v69
	v_fmamk_f16 v99, v158, 0xbbf1, v131
	v_add_f16_e32 v74, v108, v74
	v_mul_f16_e32 v142, 0x33a8, v151
	v_add_f16_e32 v156, v65, v66
	v_add_f16_e32 v147, v31, v30
	v_mul_f16_e32 v108, 0x3bf1, v159
	v_fmamk_f16 v102, v153, 0xba95, v137
	v_mul_f16_e32 v115, 0x3770, v151
	v_add_f16_e32 v93, v110, v93
	v_add_f16_e32 v94, v99, v94
	v_fma_f16 v110, v136, 0xbbc4, -v142
	v_sub_f16_e32 v160, v30, v31
	v_mul_f16_e32 v99, 0xb94e, v159
	v_fma_f16 v122, v147, 0x2fb7, -v108
	v_mul_f16_e32 v123, 0x2fb7, v156
	v_add_f16_e32 v86, v102, v86
	v_fma_f16 v102, v136, 0x3b15, -v115
	v_mul_f16_e32 v145, 0xbbc4, v149
	v_add_f16_e32 v85, v110, v85
	v_fma_f16 v110, v147, 0xb9fd, -v99
	v_add_f16_e32 v141, v122, v35
	v_mul_f16_e32 v127, 0xba95, v159
	v_fmamk_f16 v35, v160, 0x3bf1, v123
	v_mul_f16_e32 v134, 0x388b, v156
	v_add_f16_e32 v70, v102, v70
	v_mul_f16_e32 v102, 0xb9fd, v156
	v_fmamk_f16 v112, v158, 0x33a8, v145
	v_add_f16_e32 v27, v110, v27
	v_mul_f16_e32 v139, 0x33a8, v159
	v_mul_f16_e32 v140, 0xbbc4, v156
	v_fma_f16 v110, v147, 0x388b, -v127
	v_add_f16_e32 v150, v35, v69
	v_fmamk_f16 v35, v160, 0xba95, v134
	v_mul_f16_e32 v152, 0x3770, v159
	v_sub_f16_e32 v163, v71, v73
	v_fmamk_f16 v113, v160, 0xb94e, v102
	v_add_f16_e32 v86, v112, v86
	v_fma_f16 v69, v147, 0xbbc4, -v139
	v_fmamk_f16 v112, v160, 0x33a8, v140
	v_add_f16_e32 v165, v110, v70
	v_add_f16_e32 v74, v35, v74
	v_fma_f16 v35, v147, 0x3b15, -v152
	v_mul_f16_e32 v155, 0x3b15, v156
	v_add_f16_e32 v154, v37, v36
	v_add_f16_e32 v161, v73, v71
	v_mul_f16_e32 v110, 0xb3a8, v163
	v_add_f16_e32 v34, v113, v34
	v_add_f16_e32 v93, v69, v93
	;; [unrolled: 1-line block ×4, first 2 shown]
	v_fmamk_f16 v35, v160, 0x3770, v155
	v_sub_f16_e32 v164, v36, v37
	v_mul_f16_e32 v112, 0xbbc4, v161
	v_fma_f16 v69, v154, 0xbbc4, -v110
	v_mul_f16_e32 v113, 0x3770, v163
	v_mul_f16_e32 v122, 0x3b15, v161
	v_add_f16_e32 v86, v35, v86
	v_fmamk_f16 v70, v164, 0xb3a8, v112
	v_add_f16_e32 v35, v69, v27
	v_fma_f16 v27, v154, 0x3b15, -v113
	v_fmamk_f16 v157, v164, 0x3770, v122
	v_mul_f16_e32 v143, 0xb9fd, v161
	v_add_f16_e32 v69, v70, v34
	v_mul_f16_e32 v148, 0x3a95, v163
	v_add_f16_e32 v34, v27, v141
	v_add_f16_e32 v70, v157, v150
	v_fmamk_f16 v27, v164, 0xb94e, v143
	v_mul_f16_e32 v150, 0x388b, v161
	v_mul_f16_e32 v157, 0xbb7b, v163
	;; [unrolled: 1-line block ×4, first 2 shown]
	v_fma_f16 v166, v154, 0x388b, -v148
	v_add_f16_e32 v74, v27, v74
	v_fmamk_f16 v27, v164, 0x3a95, v150
	v_fma_f16 v167, v154, 0xb5ac, -v157
	v_fma_f16 v168, v154, 0xb9fd, -v141
	v_fmamk_f16 v169, v164, 0xbb7b, v162
	v_add_f16_e32 v93, v166, v93
	v_add_f16_e32 v94, v27, v94
	;; [unrolled: 1-line block ×5, first 2 shown]
	s_barrier
	buffer_gl0_inv
	s_and_saveexec_b32 s2, vcc_lo
	s_cbranch_execz .LBB0_21
; %bb.20:
	v_add_f16_e32 v33, v33, v32
	v_add_f16_e32 v76, v76, v68
	v_mul_f16_e32 v165, 0x3b15, v107
	v_mul_f16_e32 v166, 0xb770, v133
	v_mul_f16_e32 v167, 0x388b, v107
	v_add_f16_e32 v33, v38, v33
	v_add_f16_e32 v38, v67, v76
	v_mul_f16_e32 v168, 0xba95, v133
	v_mul_f16_e32 v169, 0x2fb7, v107
	v_mul_f16_e32 v170, 0xbbf1, v133
	;; [unrolled: 5-line block ×5, first 2 shown]
	v_mul_f16_e32 v178, 0xbb7b, v144
	v_mul_f16_e32 v180, 0xb3a8, v144
	;; [unrolled: 1-line block ×4, first 2 shown]
	v_fmamk_f16 v212, v120, 0xbbc4, v133
	v_mul_f16_e32 v144, 0x3770, v144
	v_fma_f16 v219, v107, 0xbbc4, -v126
	v_mul_f16_e32 v135, 0x3770, v135
	v_fmac_f16_e32 v126, 0xbbc4, v107
	v_sub_f16_e32 v117, v117, v174
	v_add_f16_e32 v109, v173, v109
	v_add_f16_e32 v95, v171, v95
	;; [unrolled: 1-line block ×3, first 2 shown]
	v_sub_f16_e32 v84, v84, v168
	v_add_f16_e32 v81, v167, v81
	v_sub_f16_e32 v39, v78, v166
	v_add_f16_e32 v72, v165, v77
	v_add_f16_e32 v29, v36, v29
	v_add_f16_e32 v30, v71, v30
	v_mul_f16_e32 v179, 0xbbc4, v116
	v_sub_f16_e32 v91, v91, v170
	v_mul_f16_e32 v181, 0xb9fd, v116
	v_mul_f16_e32 v183, 0x2fb7, v116
	v_mul_f16_e32 v185, 0x2fb7, v124
	v_mul_f16_e32 v186, 0xbbf1, v153
	v_mul_f16_e32 v187, 0xbbc4, v124
	v_mul_f16_e32 v188, 0xb3a8, v153
	v_mul_f16_e32 v190, 0x3b7b, v153
	v_mul_f16_e32 v192, 0x3770, v153
	v_mul_f16_e32 v194, 0xba95, v153
	v_add_f16_e32 v212, v68, v212
	v_fmamk_f16 v216, v130, 0x3b15, v144
	v_mul_f16_e32 v153, 0xb94e, v153
	v_add_f16_e32 v219, v32, v219
	v_fma_f16 v221, v116, 0x3b15, -v135
	v_mul_f16_e32 v146, 0xb94e, v146
	v_fma_f16 v120, v120, 0xbbc4, -v133
	v_add_f16_e32 v126, v32, v126
	v_fmac_f16_e32 v135, 0x3b15, v116
	v_add_f16_e32 v116, v68, v117
	v_sub_f16_e32 v117, v128, v184
	v_add_f16_e32 v109, v32, v109
	v_sub_f16_e32 v100, v100, v172
	v_add_f16_e32 v95, v32, v95
	v_add_f16_e32 v87, v32, v87
	v_add_f16_e32 v84, v68, v84
	v_sub_f16_e32 v92, v92, v178
	v_add_f16_e32 v81, v32, v81
	v_add_f16_e32 v88, v177, v88
	;; [unrolled: 4-line block ×3, first 2 shown]
	v_add_f16_e32 v29, v37, v29
	v_add_f16_e32 v30, v73, v30
	v_mul_f16_e32 v189, 0xb5ac, v124
	v_add_f16_e32 v91, v68, v91
	v_sub_f16_e32 v103, v103, v180
	v_add_f16_e32 v96, v179, v96
	v_mul_f16_e32 v191, 0x3b15, v124
	v_mul_f16_e32 v193, 0x388b, v124
	;; [unrolled: 1-line block ×9, first 2 shown]
	v_add_f16_e32 v212, v216, v212
	v_fmamk_f16 v216, v138, 0xb9fd, v153
	v_mul_f16_e32 v158, 0x3a95, v158
	v_add_f16_e32 v219, v221, v219
	v_fma_f16 v221, v124, 0xb9fd, -v146
	v_add_f16_e32 v120, v68, v120
	v_fma_f16 v130, v130, 0x3b15, -v144
	v_mul_f16_e32 v144, 0x3a95, v151
	v_add_f16_e32 v116, v117, v116
	v_sub_f16_e32 v117, v137, v194
	v_add_f16_e32 v121, v183, v121
	v_add_f16_e32 v100, v68, v100
	v_sub_f16_e32 v106, v106, v182
	v_add_f16_e32 v105, v181, v105
	;; [unrolled: 3-line block ×3, first 2 shown]
	v_add_f16_e32 v88, v187, v97
	v_add_f16_e32 v38, v39, v38
	v_sub_f16_e32 v39, v83, v186
	v_add_f16_e32 v32, v33, v32
	v_add_f16_e32 v33, v185, v82
	;; [unrolled: 1-line block ×4, first 2 shown]
	v_mul_f16_e32 v199, 0x3b15, v136
	v_add_f16_e32 v91, v103, v91
	v_sub_f16_e32 v103, v114, v190
	v_add_f16_e32 v87, v96, v87
	v_add_f16_e32 v96, v189, v104
	v_mul_f16_e32 v201, 0x2fb7, v136
	v_mul_f16_e32 v203, 0xbbc4, v136
	;; [unrolled: 1-line block ×9, first 2 shown]
	v_add_f16_e32 v212, v216, v212
	v_fmamk_f16 v216, v149, 0x388b, v158
	v_add_f16_e32 v219, v221, v219
	v_add_f16_e32 v120, v130, v120
	v_fma_f16 v130, v136, 0x388b, -v144
	v_mul_f16_e32 v160, 0xbb7b, v160
	v_fma_f16 v138, v138, 0xb9fd, -v153
	v_add_f16_e32 v116, v117, v116
	v_sub_f16_e32 v117, v145, v204
	v_add_f16_e32 v109, v121, v109
	v_add_f16_e32 v121, v193, v132
	v_add_f16_e32 v100, v106, v100
	v_sub_f16_e32 v106, v119, v192
	v_add_f16_e32 v95, v105, v95
	v_add_f16_e32 v105, v191, v118
	;; [unrolled: 4-line block ×4, first 2 shown]
	v_add_f16_e32 v28, v28, v29
	v_add_f16_e32 v29, v64, v30
	v_mul_f16_e32 v209, 0x388b, v147
	v_add_f16_e32 v126, v135, v126
	v_fmac_f16_e32 v146, 0xb9fd, v124
	v_add_f16_e32 v91, v103, v91
	v_sub_f16_e32 v103, v125, v200
	v_add_f16_e32 v87, v96, v87
	v_add_f16_e32 v96, v199, v115
	v_mul_f16_e32 v211, 0xbbc4, v147
	v_mul_f16_e32 v214, 0x3b15, v147
	;; [unrolled: 1-line block ×6, first 2 shown]
	v_add_f16_e32 v212, v216, v212
	v_mul_f16_e32 v151, 0xb94e, v164
	v_mul_f16_e32 v153, 0x3a95, v164
	v_add_f16_e32 v130, v130, v219
	v_fmamk_f16 v219, v156, 0xb5ac, v160
	v_add_f16_e32 v120, v138, v120
	v_mul_f16_e32 v138, 0x3bf1, v164
	v_mul_f16_e32 v164, 0xbb7b, v164
	v_add_f16_e32 v116, v117, v116
	v_sub_f16_e32 v117, v155, v215
	v_add_f16_e32 v109, v121, v109
	v_add_f16_e32 v121, v203, v142
	v_add_f16_e32 v100, v106, v100
	v_sub_f16_e32 v106, v131, v202
	v_add_f16_e32 v95, v105, v95
	v_add_f16_e32 v105, v201, v129
	;; [unrolled: 4-line block ×4, first 2 shown]
	v_add_f16_e32 v25, v25, v28
	v_add_f16_e32 v28, v63, v29
	v_mul_f16_e32 v216, 0xb9fd, v154
	v_mul_f16_e32 v159, 0xbb7b, v159
	v_fma_f16 v149, v149, 0x388b, -v158
	v_add_f16_e32 v124, v146, v126
	v_fmac_f16_e32 v144, 0x388b, v136
	v_add_f16_e32 v91, v103, v91
	v_sub_f16_e32 v103, v134, v210
	v_add_f16_e32 v87, v96, v87
	v_add_f16_e32 v96, v209, v127
	v_mul_f16_e32 v221, 0x388b, v154
	v_add_f16_e32 v212, v219, v212
	v_mul_f16_e32 v219, 0xb5ac, v154
	v_add_f16_e32 v116, v117, v116
	v_sub_f16_e32 v117, v162, v164
	v_add_f16_e32 v109, v121, v109
	v_add_f16_e32 v121, v214, v152
	v_add_f16_e32 v100, v106, v100
	v_sub_f16_e32 v106, v140, v213
	v_add_f16_e32 v95, v105, v95
	v_add_f16_e32 v105, v211, v139
	;; [unrolled: 4-line block ×3, first 2 shown]
	v_sub_f16_e32 v33, v112, v218
	v_add_f16_e32 v29, v30, v32
	v_add_f16_e32 v30, v217, v110
	;; [unrolled: 1-line block ×5, first 2 shown]
	v_fma_f16 v158, v147, 0xb5ac, -v159
	v_mul_f16_e32 v163, 0x3bf1, v163
	v_add_f16_e32 v120, v149, v120
	v_fma_f16 v156, v156, 0xb5ac, -v160
	v_add_f16_e32 v124, v144, v124
	v_fmac_f16_e32 v159, 0xb5ac, v147
	v_add_f16_e32 v91, v103, v91
	v_sub_f16_e32 v103, v143, v151
	v_add_f16_e32 v87, v96, v87
	v_add_f16_e32 v96, v216, v141
	;; [unrolled: 1-line block ×6, first 2 shown]
	v_sub_f16_e32 v106, v150, v153
	v_add_f16_e32 v95, v105, v95
	v_add_f16_e32 v105, v221, v148
	;; [unrolled: 1-line block ×4, first 2 shown]
	v_mov_b32_e32 v30, 2
	v_add_f16_e32 v25, v60, v25
	v_add_f16_e32 v26, v61, v26
	;; [unrolled: 1-line block ×5, first 2 shown]
	v_fmamk_f16 v158, v161, 0x2fb7, v138
	v_fma_f16 v149, v154, 0x2fb7, -v163
	v_add_f16_e32 v120, v156, v120
	v_fma_f16 v128, v161, 0x2fb7, -v138
	v_add_f16_e32 v124, v159, v124
	v_fmac_f16_e32 v163, 0x2fb7, v154
	v_add_f16_e32 v91, v103, v91
	v_add_f16_e32 v87, v96, v87
	;; [unrolled: 1-line block ×3, first 2 shown]
	v_lshlrev_b32_sdwa v30, v30, v42 dst_sel:DWORD dst_unused:UNUSED_PAD src0_sel:DWORD src1_sel:WORD_0
	v_pack_b32_f16 v28, v29, v28
	v_pack_b32_f16 v25, v25, v26
	v_pack_b32_f16 v29, v32, v31
	v_add_f16_e32 v31, v106, v100
	v_add_f16_e32 v32, v105, v95
	v_add_f16_e32 v107, v158, v212
	v_add_f16_e32 v130, v149, v130
	v_add_f16_e32 v120, v128, v120
	v_pack_b32_f16 v26, v87, v91
	v_add_f16_e32 v33, v163, v124
	ds_write2_b32 v30, v25, v28 offset1:1
	ds_write2_b32 v30, v29, v26 offset0:2 offset1:3
	v_pack_b32_f16 v25, v109, v116
	v_pack_b32_f16 v26, v32, v31
	;; [unrolled: 1-line block ×4, first 2 shown]
	v_perm_b32 v31, v94, v93, 0x5040100
	v_perm_b32 v32, v86, v85, 0x5040100
	;; [unrolled: 1-line block ×5, first 2 shown]
	ds_write2_b32 v30, v26, v25 offset0:4 offset1:5
	ds_write2_b32 v30, v29, v28 offset0:6 offset1:7
	ds_write2_b32 v30, v32, v31 offset0:8 offset1:9
	ds_write2_b32 v30, v36, v33 offset0:10 offset1:11
	ds_write_b32 v30, v37 offset:48
.LBB0_21:
	s_or_b32 exec_lo, exec_lo, s2
	v_add_nc_u32_e32 v25, 0xc00, v40
	v_add_nc_u32_e32 v26, 0x500, v40
	;; [unrolled: 1-line block ×3, first 2 shown]
	s_waitcnt lgkmcnt(0)
	s_barrier
	buffer_gl0_inv
	ds_read2_b32 v[28:29], v40 offset1:182
	ds_read2_b32 v[32:33], v25 offset0:51 offset1:233
	ds_read2_b32 v[25:26], v26 offset0:44 offset1:226
	;; [unrolled: 1-line block ×3, first 2 shown]
	s_and_saveexec_b32 s2, s0
	s_cbranch_execz .LBB0_23
; %bb.22:
	ds_read_b32 v85, v40 offset:2912
	ds_read_b32 v93, v40 offset:6188
	s_waitcnt lgkmcnt(1)
	v_lshrrev_b32_e32 v86, 16, v85
	s_waitcnt lgkmcnt(0)
	v_lshrrev_b32_e32 v94, 16, v93
.LBB0_23:
	s_or_b32 exec_lo, exec_lo, s2
	s_waitcnt lgkmcnt(2)
	v_lshrrev_b32_e32 v37, 16, v32
	v_lshrrev_b32_e32 v39, 16, v33
	v_mul_f16_sdwa v62, v53, v32 dst_sel:DWORD dst_unused:UNUSED_PAD src0_sel:WORD_1 src1_sel:DWORD
	s_waitcnt lgkmcnt(0)
	v_lshrrev_b32_e32 v60, 16, v30
	v_lshrrev_b32_e32 v65, 16, v31
	v_mul_f16_sdwa v61, v53, v37 dst_sel:DWORD dst_unused:UNUSED_PAD src0_sel:WORD_1 src1_sel:DWORD
	v_mul_f16_sdwa v64, v48, v39 dst_sel:DWORD dst_unused:UNUSED_PAD src0_sel:WORD_1 src1_sel:DWORD
	v_lshrrev_b32_e32 v36, 16, v28
	v_lshrrev_b32_e32 v38, 16, v29
	;; [unrolled: 1-line block ×3, first 2 shown]
	v_fmac_f16_e32 v61, v53, v32
	v_fma_f16 v32, v53, v37, -v62
	v_mul_f16_sdwa v37, v48, v33 dst_sel:DWORD dst_unused:UNUSED_PAD src0_sel:WORD_1 src1_sel:DWORD
	v_fmac_f16_e32 v64, v48, v33
	v_mul_f16_sdwa v33, v47, v60 dst_sel:DWORD dst_unused:UNUSED_PAD src0_sel:WORD_1 src1_sel:DWORD
	v_mul_f16_sdwa v53, v47, v30 dst_sel:DWORD dst_unused:UNUSED_PAD src0_sel:WORD_1 src1_sel:DWORD
	v_mul_f16_sdwa v62, v46, v65 dst_sel:DWORD dst_unused:UNUSED_PAD src0_sel:WORD_1 src1_sel:DWORD
	v_fma_f16 v37, v48, v39, -v37
	v_mul_f16_sdwa v39, v46, v31 dst_sel:DWORD dst_unused:UNUSED_PAD src0_sel:WORD_1 src1_sel:DWORD
	v_fmac_f16_e32 v33, v47, v30
	v_fma_f16 v30, v47, v60, -v53
	v_lshrrev_b32_e32 v63, 16, v26
	v_fmac_f16_e32 v62, v46, v31
	v_mul_f16_sdwa v31, v44, v94 dst_sel:DWORD dst_unused:UNUSED_PAD src0_sel:WORD_1 src1_sel:DWORD
	v_fma_f16 v39, v46, v65, -v39
	v_mul_f16_sdwa v46, v44, v93 dst_sel:DWORD dst_unused:UNUSED_PAD src0_sel:WORD_1 src1_sel:DWORD
	v_sub_f16_e32 v47, v28, v61
	v_sub_f16_e32 v32, v36, v32
	;; [unrolled: 1-line block ×6, first 2 shown]
	v_fmac_f16_e32 v31, v44, v93
	v_fma_f16 v44, v44, v94, -v46
	v_sub_f16_e32 v46, v26, v62
	v_sub_f16_e32 v39, v63, v39
	v_fma_f16 v28, v28, 2.0, -v47
	v_fma_f16 v36, v36, 2.0, -v32
	;; [unrolled: 1-line block ×8, first 2 shown]
	v_sub_f16_e32 v26, v85, v31
	v_sub_f16_e32 v25, v86, v44
	v_pack_b32_f16 v28, v28, v36
	v_pack_b32_f16 v31, v47, v32
	;; [unrolled: 1-line block ×8, first 2 shown]
	s_barrier
	buffer_gl0_inv
	ds_write2_b32 v49, v28, v31 offset1:13
	ds_write2_b32 v50, v29, v32 offset1:13
	;; [unrolled: 1-line block ×4, first 2 shown]
	s_and_saveexec_b32 s2, s0
	s_cbranch_execz .LBB0_25
; %bb.24:
	v_fma_f16 v28, v85, 2.0, -v26
	v_mov_b32_e32 v29, 2
	v_fma_f16 v30, v86, 2.0, -v25
	v_lshlrev_b32_sdwa v29, v29, v45 dst_sel:DWORD dst_unused:UNUSED_PAD src0_sel:DWORD src1_sel:WORD_0
	v_pack_b32_f16 v28, v28, v30
	v_perm_b32 v30, v25, v26, 0x5040100
	ds_write2_b32 v29, v28, v30 offset1:13
.LBB0_25:
	s_or_b32 exec_lo, exec_lo, s2
	v_add_nc_u32_e32 v28, 0x500, v40
	v_add_nc_u32_e32 v30, 0x1000, v40
	;; [unrolled: 1-line block ×3, first 2 shown]
	s_waitcnt lgkmcnt(0)
	s_barrier
	buffer_gl0_inv
	ds_read2_b32 v[32:33], v40 offset1:182
	ds_read_b32 v42, v40 offset:5824
	ds_read2_b32 v[28:29], v28 offset0:44 offset1:226
	ds_read2_b32 v[36:37], v30 offset0:68 offset1:250
	;; [unrolled: 1-line block ×3, first 2 shown]
	s_waitcnt lgkmcnt(0)
	s_barrier
	buffer_gl0_inv
	v_lshrrev_b32_e32 v45, 16, v42
	v_lshrrev_b32_e32 v46, 16, v29
	;; [unrolled: 1-line block ×4, first 2 shown]
	v_mul_f16_sdwa v51, v15, v29 dst_sel:DWORD dst_unused:UNUSED_PAD src0_sel:WORD_1 src1_sel:DWORD
	v_mul_f16_sdwa v52, v16, v36 dst_sel:DWORD dst_unused:UNUSED_PAD src0_sel:WORD_1 src1_sel:DWORD
	v_lshrrev_b32_e32 v50, 16, v39
	v_mul_f16_sdwa v53, v13, v38 dst_sel:DWORD dst_unused:UNUSED_PAD src0_sel:WORD_1 src1_sel:DWORD
	v_mul_f16_sdwa v61, v15, v46 dst_sel:DWORD dst_unused:UNUSED_PAD src0_sel:WORD_1 src1_sel:DWORD
	v_fma_f16 v46, v15, v46, -v51
	v_mul_f16_sdwa v51, v16, v47 dst_sel:DWORD dst_unused:UNUSED_PAD src0_sel:WORD_1 src1_sel:DWORD
	v_fma_f16 v47, v16, v47, -v52
	v_mul_f16_sdwa v52, v13, v48 dst_sel:DWORD dst_unused:UNUSED_PAD src0_sel:WORD_1 src1_sel:DWORD
	v_lshrrev_b32_e32 v49, 16, v37
	v_fma_f16 v48, v13, v48, -v53
	v_mul_f16_sdwa v62, v11, v50 dst_sel:DWORD dst_unused:UNUSED_PAD src0_sel:WORD_1 src1_sel:DWORD
	v_fmac_f16_e32 v61, v15, v29
	v_fmac_f16_e32 v51, v16, v36
	v_fmac_f16_e32 v52, v13, v38
	v_mul_f16_sdwa v13, v11, v39 dst_sel:DWORD dst_unused:UNUSED_PAD src0_sel:WORD_1 src1_sel:DWORD
	v_mul_f16_sdwa v15, v12, v45 dst_sel:DWORD dst_unused:UNUSED_PAD src0_sel:WORD_1 src1_sel:DWORD
	;; [unrolled: 1-line block ×3, first 2 shown]
	v_lshrrev_b32_e32 v30, 16, v32
	v_mul_f16_sdwa v60, v14, v37 dst_sel:DWORD dst_unused:UNUSED_PAD src0_sel:WORD_1 src1_sel:DWORD
	v_mul_f16_sdwa v53, v14, v49 dst_sel:DWORD dst_unused:UNUSED_PAD src0_sel:WORD_1 src1_sel:DWORD
	v_fmac_f16_e32 v62, v11, v39
	v_fma_f16 v11, v11, v50, -v13
	v_add_f16_e32 v13, v61, v51
	v_fmac_f16_e32 v15, v12, v42
	v_fma_f16 v12, v12, v45, -v16
	v_add_f16_e32 v16, v46, v47
	;; [unrolled: 3-line block ×3, first 2 shown]
	v_fma_f16 v13, -0.5, v13, v32
	v_sub_f16_e32 v32, v46, v47
	v_add_f16_e32 v36, v30, v46
	v_fmac_f16_e32 v30, -0.5, v16
	v_sub_f16_e32 v16, v61, v51
	v_lshrrev_b32_e32 v44, 16, v33
	v_fmamk_f16 v37, v32, 0xbaee, v13
	v_fmac_f16_e32 v13, 0x3aee, v32
	v_add_f16_e32 v32, v52, v53
	v_fmamk_f16 v38, v16, 0x3aee, v30
	v_fmac_f16_e32 v30, 0xbaee, v16
	v_add_f16_e32 v16, v48, v14
	v_add_f16_e32 v39, v33, v52
	v_fmac_f16_e32 v33, -0.5, v32
	v_sub_f16_e32 v32, v48, v14
	v_add_f16_e32 v42, v44, v48
	v_fmac_f16_e32 v44, -0.5, v16
	v_sub_f16_e32 v16, v52, v53
	v_lshrrev_b32_e32 v31, 16, v28
	v_fmamk_f16 v45, v32, 0xbaee, v33
	v_fmac_f16_e32 v33, 0x3aee, v32
	v_add_f16_e32 v14, v42, v14
	v_add_f16_e32 v32, v62, v15
	v_fmamk_f16 v42, v16, 0x3aee, v44
	v_fmac_f16_e32 v44, 0xbaee, v16
	v_add_f16_e32 v16, v11, v12
	v_add_f16_e32 v29, v29, v51
	v_add_f16_e32 v36, v36, v47
	v_add_f16_e32 v46, v28, v62
	v_fmac_f16_e32 v28, -0.5, v32
	v_sub_f16_e32 v32, v11, v12
	v_add_f16_e32 v47, v31, v11
	v_fmac_f16_e32 v31, -0.5, v16
	v_sub_f16_e32 v16, v62, v15
	v_add_f16_e32 v39, v39, v53
	v_pack_b32_f16 v29, v29, v36
	v_pack_b32_f16 v36, v37, v38
	v_add_f16_e32 v15, v46, v15
	v_fmamk_f16 v11, v32, 0xbaee, v28
	v_fmac_f16_e32 v28, 0x3aee, v32
	v_add_f16_e32 v12, v47, v12
	v_fmamk_f16 v32, v16, 0x3aee, v31
	v_fmac_f16_e32 v31, 0xbaee, v16
	v_pack_b32_f16 v13, v13, v30
	v_pack_b32_f16 v14, v39, v14
	;; [unrolled: 1-line block ×3, first 2 shown]
	ds_write2_b32 v56, v29, v36 offset1:26
	v_pack_b32_f16 v29, v33, v44
	v_pack_b32_f16 v12, v15, v12
	;; [unrolled: 1-line block ×4, first 2 shown]
	ds_write_b32 v56, v13 offset:208
	ds_write2_b32 v55, v14, v16 offset1:26
	ds_write_b32 v55, v29 offset:208
	ds_write2_b32 v54, v12, v15 offset1:26
	ds_write_b32 v54, v30 offset:208
	v_add_nc_u32_e32 v12, 0x700, v40
	v_add_nc_u32_e32 v15, 0xe80, v40
	s_waitcnt lgkmcnt(0)
	s_barrier
	buffer_gl0_inv
	ds_read2_b32 v[13:14], v40 offset1:234
	ds_read2_b32 v[29:30], v12 offset0:20 offset1:254
	ds_read2_b32 v[15:16], v15 offset0:8 offset1:242
	ds_read_b32 v33, v40 offset:5616
	s_and_saveexec_b32 s0, s1
	s_cbranch_execz .LBB0_27
; %bb.26:
	v_add_nc_u32_e32 v11, 0x2c0, v40
	v_add_nc_u32_e32 v25, 0xa00, v40
	;; [unrolled: 1-line block ×3, first 2 shown]
	ds_read_b32 v58, v40 offset:6344
	ds_read2_b32 v[11:12], v11 offset0:6 offset1:240
	ds_read2_b32 v[26:27], v25 offset0:10 offset1:244
	;; [unrolled: 1-line block ×3, first 2 shown]
	s_waitcnt lgkmcnt(3)
	v_lshrrev_b32_e32 v59, 16, v58
	s_waitcnt lgkmcnt(2)
	v_lshrrev_b32_e32 v32, 16, v11
	v_lshrrev_b32_e32 v31, 16, v12
	s_waitcnt lgkmcnt(1)
	v_lshrrev_b32_e32 v25, 16, v26
	;; [unrolled: 3-line block ×3, first 2 shown]
	v_lshrrev_b32_e32 v69, 16, v35
	v_mov_b32_e32 v28, v12
.LBB0_27:
	s_or_b32 exec_lo, exec_lo, s0
	s_waitcnt lgkmcnt(3)
	v_lshrrev_b32_e32 v12, 16, v14
	s_waitcnt lgkmcnt(2)
	v_lshrrev_b32_e32 v36, 16, v29
	v_lshrrev_b32_e32 v37, 16, v30
	v_mul_f16_sdwa v38, v4, v14 dst_sel:DWORD dst_unused:UNUSED_PAD src0_sel:WORD_1 src1_sel:DWORD
	s_waitcnt lgkmcnt(1)
	v_lshrrev_b32_e32 v39, 16, v15
	v_mul_f16_sdwa v42, v4, v12 dst_sel:DWORD dst_unused:UNUSED_PAD src0_sel:WORD_1 src1_sel:DWORD
	v_lshrrev_b32_e32 v44, 16, v16
	s_waitcnt lgkmcnt(0)
	v_lshrrev_b32_e32 v45, 16, v33
	v_fma_f16 v12, v4, v12, -v38
	v_mul_f16_sdwa v38, v5, v36 dst_sel:DWORD dst_unused:UNUSED_PAD src0_sel:WORD_1 src1_sel:DWORD
	v_fmac_f16_e32 v42, v4, v14
	v_mul_f16_sdwa v4, v5, v29 dst_sel:DWORD dst_unused:UNUSED_PAD src0_sel:WORD_1 src1_sel:DWORD
	v_mul_f16_sdwa v14, v6, v37 dst_sel:DWORD dst_unused:UNUSED_PAD src0_sel:WORD_1 src1_sel:DWORD
	v_mul_f16_sdwa v46, v6, v30 dst_sel:DWORD dst_unused:UNUSED_PAD src0_sel:WORD_1 src1_sel:DWORD
	v_mul_f16_sdwa v47, v7, v39 dst_sel:DWORD dst_unused:UNUSED_PAD src0_sel:WORD_1 src1_sel:DWORD
	v_fmac_f16_e32 v38, v5, v29
	v_fma_f16 v4, v5, v36, -v4
	v_fmac_f16_e32 v14, v6, v30
	v_fma_f16 v5, v6, v37, -v46
	v_fmac_f16_e32 v47, v7, v15
	v_mul_f16_sdwa v6, v18, v45 dst_sel:DWORD dst_unused:UNUSED_PAD src0_sel:WORD_1 src1_sel:DWORD
	v_mul_f16_sdwa v29, v18, v33 dst_sel:DWORD dst_unused:UNUSED_PAD src0_sel:WORD_1 src1_sel:DWORD
	;; [unrolled: 1-line block ×5, first 2 shown]
	v_fmac_f16_e32 v6, v18, v33
	v_fma_f16 v18, v18, v45, -v29
	v_fma_f16 v7, v7, v39, -v15
	v_fmac_f16_e32 v30, v17, v16
	v_fma_f16 v15, v17, v44, -v36
	v_add_f16_e32 v16, v42, v6
	v_add_f16_e32 v17, v12, v18
	v_sub_f16_e32 v12, v12, v18
	v_add_f16_e32 v18, v38, v30
	v_add_f16_e32 v29, v4, v15
	v_sub_f16_e32 v30, v38, v30
	v_sub_f16_e32 v4, v4, v15
	v_add_f16_e32 v15, v14, v47
	v_add_f16_e32 v33, v5, v7
	v_sub_f16_e32 v14, v47, v14
	;; [unrolled: 4-line block ×3, first 2 shown]
	v_sub_f16_e32 v37, v18, v16
	v_sub_f16_e32 v38, v29, v17
	;; [unrolled: 1-line block ×6, first 2 shown]
	v_add_f16_e32 v39, v14, v30
	v_add_f16_e32 v42, v5, v4
	v_sub_f16_e32 v44, v14, v30
	v_sub_f16_e32 v45, v5, v4
	v_add_f16_e32 v7, v15, v7
	v_add_f16_e32 v15, v33, v36
	v_sub_f16_e32 v30, v30, v6
	v_sub_f16_e32 v4, v4, v12
	;; [unrolled: 1-line block ×4, first 2 shown]
	v_add_f16_e32 v6, v39, v6
	v_add_f16_e32 v12, v42, v12
	;; [unrolled: 1-line block ×3, first 2 shown]
	v_add_f16_sdwa v13, v13, v15 dst_sel:DWORD dst_unused:UNUSED_PAD src0_sel:WORD_1 src1_sel:DWORD
	v_mul_f16_e32 v16, 0x3a52, v16
	v_mul_f16_e32 v17, 0x3a52, v17
	;; [unrolled: 1-line block ×8, first 2 shown]
	v_fmamk_f16 v7, v7, 0xbcab, v33
	v_fmamk_f16 v15, v15, 0xbcab, v13
	;; [unrolled: 1-line block ×4, first 2 shown]
	v_fma_f16 v36, v37, 0x39e0, -v36
	v_fma_f16 v39, v38, 0x39e0, -v39
	;; [unrolled: 1-line block ×4, first 2 shown]
	v_fmamk_f16 v37, v14, 0xb574, v42
	v_fmamk_f16 v38, v5, 0xb574, v44
	v_fma_f16 v30, v30, 0xbb00, -v42
	v_fma_f16 v4, v4, 0xbb00, -v44
	;; [unrolled: 1-line block ×4, first 2 shown]
	v_add_f16_e32 v18, v18, v7
	v_add_f16_e32 v29, v29, v15
	v_fmac_f16_e32 v37, 0xb70e, v6
	v_fmac_f16_e32 v38, 0xb70e, v12
	v_add_f16_e32 v36, v36, v7
	v_add_f16_e32 v39, v39, v15
	;; [unrolled: 1-line block ×4, first 2 shown]
	v_fmac_f16_e32 v30, 0xb70e, v6
	v_fmac_f16_e32 v5, 0xb70e, v12
	v_fmac_f16_e32 v14, 0xb70e, v6
	v_fmac_f16_e32 v4, 0xb70e, v12
	v_add_f16_e32 v6, v38, v18
	v_sub_f16_e32 v12, v29, v37
	v_add_f16_e32 v16, v5, v7
	v_sub_f16_e32 v17, v15, v14
	v_sub_f16_e32 v42, v36, v4
	v_add_f16_e32 v44, v30, v39
	v_add_f16_e32 v4, v4, v36
	v_sub_f16_e32 v30, v39, v30
	v_sub_f16_e32 v5, v7, v5
	v_add_f16_e32 v7, v14, v15
	v_sub_f16_e32 v14, v18, v38
	v_add_f16_e32 v15, v37, v29
	v_pack_b32_f16 v13, v33, v13
	v_pack_b32_f16 v6, v6, v12
	;; [unrolled: 1-line block ×6, first 2 shown]
	v_add_nc_u32_e32 v7, 0x400, v57
	v_pack_b32_f16 v14, v14, v15
	s_barrier
	buffer_gl0_inv
	ds_write2_b32 v57, v13, v6 offset1:78
	ds_write2_b32 v57, v12, v16 offset0:156 offset1:234
	ds_write2_b32 v7, v4, v5 offset0:56 offset1:134
	ds_write_b32 v57, v14 offset:1872
	s_and_saveexec_b32 s0, s1
	s_cbranch_execz .LBB0_29
; %bb.28:
	v_mul_f16_sdwa v4, v0, v31 dst_sel:DWORD dst_unused:UNUSED_PAD src0_sel:WORD_1 src1_sel:DWORD
	v_mul_f16_sdwa v7, v1, v25 dst_sel:DWORD dst_unused:UNUSED_PAD src0_sel:WORD_1 src1_sel:DWORD
	;; [unrolled: 1-line block ×5, first 2 shown]
	v_fmac_f16_e32 v4, v0, v28
	v_fmac_f16_e32 v7, v1, v26
	v_mul_f16_sdwa v16, v10, v58 dst_sel:DWORD dst_unused:UNUSED_PAD src0_sel:WORD_1 src1_sel:DWORD
	v_mul_f16_sdwa v28, v0, v28 dst_sel:DWORD dst_unused:UNUSED_PAD src0_sel:WORD_1 src1_sel:DWORD
	;; [unrolled: 1-line block ×5, first 2 shown]
	v_fmac_f16_e32 v6, v2, v27
	v_fmac_f16_e32 v12, v9, v35
	;; [unrolled: 1-line block ×3, first 2 shown]
	v_fma_f16 v10, v10, v59, -v16
	v_fma_f16 v0, v0, v31, -v28
	v_mul_f16_sdwa v27, v2, v27 dst_sel:DWORD dst_unused:UNUSED_PAD src0_sel:WORD_1 src1_sel:DWORD
	v_mul_f16_sdwa v28, v3, v34 dst_sel:DWORD dst_unused:UNUSED_PAD src0_sel:WORD_1 src1_sel:DWORD
	v_fma_f16 v9, v9, v69, -v29
	v_fma_f16 v1, v1, v25, -v26
	v_fmac_f16_e32 v5, v3, v34
	v_add_f16_e32 v25, v10, v0
	v_fma_f16 v2, v2, v74, -v27
	v_fma_f16 v3, v3, v70, -v28
	v_add_f16_e32 v26, v9, v1
	v_sub_f16_e32 v15, v7, v12
	v_sub_f16_e32 v17, v4, v13
	v_add_f16_e32 v4, v13, v4
	v_add_f16_e32 v28, v2, v3
	;; [unrolled: 1-line block ×4, first 2 shown]
	v_sub_f16_e32 v14, v5, v6
	v_add_f16_e32 v5, v6, v5
	v_sub_f16_e32 v30, v25, v28
	v_add_f16_e32 v29, v28, v29
	;; [unrolled: 2-line block ×3, first 2 shown]
	v_sub_f16_e32 v2, v3, v2
	v_sub_f16_e32 v1, v1, v9
	v_mul_f16_e32 v13, 0x3a52, v30
	v_add_f16_e32 v6, v32, v29
	v_sub_f16_e32 v31, v4, v5
	v_sub_f16_e32 v0, v0, v10
	;; [unrolled: 1-line block ×4, first 2 shown]
	v_add_f16_e32 v14, v14, v15
	v_add_f16_e32 v28, v5, v28
	v_sub_f16_e32 v10, v2, v1
	v_sub_f16_e32 v15, v15, v17
	v_mul_f16_e32 v30, 0x2b26, v12
	v_fmamk_f16 v12, v12, 0x2b26, v13
	v_fmamk_f16 v29, v29, 0xbcab, v6
	v_mul_f16_e32 v3, 0x3a52, v31
	v_sub_f16_e32 v5, v5, v7
	v_sub_f16_e32 v31, v0, v2
	v_add_f16_e32 v2, v2, v1
	v_sub_f16_e32 v25, v26, v25
	v_sub_f16_e32 v1, v1, v0
	v_mul_f16_e32 v18, 0x3846, v18
	v_add_f16_e32 v9, v11, v28
	v_mul_f16_e32 v10, 0x3846, v10
	v_mul_f16_e32 v33, 0xbb00, v15
	v_add_f16_e32 v11, v12, v29
	v_fmamk_f16 v12, v5, 0x2b26, v3
	v_mul_f16_e32 v5, 0x2b26, v5
	v_sub_f16_e32 v4, v7, v4
	v_fma_f16 v7, v25, 0xb9e0, -v13
	v_mul_f16_e32 v13, 0xbb00, v1
	v_fmamk_f16 v27, v16, 0xb574, v18
	v_add_f16_e32 v14, v14, v17
	v_fmamk_f16 v28, v28, 0xbcab, v9
	v_fmamk_f16 v17, v31, 0xb574, v10
	v_add_f16_e32 v0, v2, v0
	v_fma_f16 v2, v16, 0x3574, -v33
	v_fma_f16 v3, v4, 0xb9e0, -v3
	;; [unrolled: 1-line block ×7, first 2 shown]
	v_fmac_f16_e32 v27, 0xb70e, v14
	v_add_f16_e32 v12, v12, v28
	v_fmac_f16_e32 v17, 0xb70e, v0
	v_fmac_f16_e32 v2, 0xb70e, v14
	v_add_f16_e32 v7, v7, v29
	v_mov_b32_e32 v25, 2
	v_add_f16_e32 v3, v3, v28
	v_fmac_f16_e32 v13, 0xb70e, v0
	v_add_f16_e32 v5, v16, v29
	v_fmac_f16_e32 v15, 0xb70e, v14
	v_fmac_f16_e32 v1, 0xb70e, v0
	v_add_f16_e32 v0, v4, v28
	v_add_f16_e32 v32, v27, v11
	v_sub_f16_e32 v4, v12, v17
	v_add_f16_e32 v10, v2, v7
	v_sub_f16_e32 v2, v7, v2
	v_sub_f16_e32 v7, v11, v27
	v_add_f16_e32 v11, v17, v12
	v_lshlrev_b32_sdwa v12, v25, v43 dst_sel:DWORD dst_unused:UNUSED_PAD src0_sel:DWORD src1_sel:WORD_0
	v_sub_f16_e32 v14, v3, v13
	v_sub_f16_e32 v16, v5, v15
	v_add_f16_e32 v18, v1, v0
	v_add_f16_e32 v5, v15, v5
	;; [unrolled: 1-line block ×3, first 2 shown]
	v_sub_f16_e32 v0, v0, v1
	v_pack_b32_f16 v1, v9, v6
	v_pack_b32_f16 v6, v11, v7
	v_add_nc_u32_e32 v7, 0x1000, v12
	v_pack_b32_f16 v2, v3, v2
	v_pack_b32_f16 v0, v0, v5
	v_add_nc_u32_e32 v3, 0x1200, v12
	;; [unrolled: 3-line block ×3, first 2 shown]
	v_pack_b32_f16 v4, v4, v32
	ds_write2_b32 v7, v1, v6 offset0:68 offset1:146
	ds_write2_b32 v3, v2, v0 offset0:96 offset1:174
	;; [unrolled: 1-line block ×3, first 2 shown]
	ds_write_b32 v12, v4 offset:6240
.LBB0_29:
	s_or_b32 exec_lo, exec_lo, s0
	v_add_nc_u32_e32 v9, 0x500, v40
	v_add_nc_u32_e32 v13, 0x1000, v40
	v_add_nc_u32_e32 v10, 0xb00, v40
	s_waitcnt lgkmcnt(0)
	s_barrier
	buffer_gl0_inv
	ds_read2_b32 v[0:1], v40 offset1:182
	ds_read_b32 v11, v40 offset:5824
	ds_read2_b32 v[2:3], v9 offset0:44 offset1:226
	ds_read2_b32 v[4:5], v13 offset0:68 offset1:250
	;; [unrolled: 1-line block ×3, first 2 shown]
	s_waitcnt lgkmcnt(3)
	v_lshrrev_b32_e32 v15, 16, v11
	s_waitcnt lgkmcnt(2)
	v_lshrrev_b32_e32 v16, 16, v3
	;; [unrolled: 2-line block ×3, first 2 shown]
	v_mul_f16_sdwa v28, v21, v3 dst_sel:DWORD dst_unused:UNUSED_PAD src0_sel:WORD_1 src1_sel:DWORD
	s_waitcnt lgkmcnt(0)
	v_lshrrev_b32_e32 v18, 16, v6
	v_mul_f16_sdwa v29, v22, v4 dst_sel:DWORD dst_unused:UNUSED_PAD src0_sel:WORD_1 src1_sel:DWORD
	v_lshrrev_b32_e32 v25, 16, v5
	v_lshrrev_b32_e32 v27, 16, v7
	v_mul_f16_sdwa v30, v23, v6 dst_sel:DWORD dst_unused:UNUSED_PAD src0_sel:WORD_1 src1_sel:DWORD
	v_mul_f16_sdwa v32, v21, v16 dst_sel:DWORD dst_unused:UNUSED_PAD src0_sel:WORD_1 src1_sel:DWORD
	v_fma_f16 v16, v21, v16, -v28
	v_mul_f16_sdwa v28, v22, v17 dst_sel:DWORD dst_unused:UNUSED_PAD src0_sel:WORD_1 src1_sel:DWORD
	v_fma_f16 v17, v22, v17, -v29
	v_mul_f16_sdwa v29, v23, v18 dst_sel:DWORD dst_unused:UNUSED_PAD src0_sel:WORD_1 src1_sel:DWORD
	v_fma_f16 v18, v23, v18, -v30
	v_mul_f16_sdwa v30, v24, v25 dst_sel:DWORD dst_unused:UNUSED_PAD src0_sel:WORD_1 src1_sel:DWORD
	v_mul_f16_sdwa v33, v19, v27 dst_sel:DWORD dst_unused:UNUSED_PAD src0_sel:WORD_1 src1_sel:DWORD
	v_fmac_f16_e32 v32, v21, v3
	v_fmac_f16_e32 v28, v22, v4
	v_fmac_f16_e32 v29, v23, v6
	v_mul_f16_sdwa v6, v20, v11 dst_sel:DWORD dst_unused:UNUSED_PAD src0_sel:WORD_1 src1_sel:DWORD
	v_lshrrev_b32_e32 v12, 16, v0
	v_mul_f16_sdwa v31, v24, v5 dst_sel:DWORD dst_unused:UNUSED_PAD src0_sel:WORD_1 src1_sel:DWORD
	v_fmac_f16_e32 v30, v24, v5
	v_mul_f16_sdwa v3, v19, v7 dst_sel:DWORD dst_unused:UNUSED_PAD src0_sel:WORD_1 src1_sel:DWORD
	v_mul_f16_sdwa v5, v20, v15 dst_sel:DWORD dst_unused:UNUSED_PAD src0_sel:WORD_1 src1_sel:DWORD
	v_fmac_f16_e32 v33, v19, v7
	v_add_f16_e32 v7, v32, v28
	v_fma_f16 v6, v20, v15, -v6
	v_add_f16_e32 v15, v16, v17
	v_fmac_f16_e32 v5, v20, v11
	v_add_f16_e32 v11, v0, v32
	v_fma_f16 v0, -0.5, v7, v0
	v_sub_f16_e32 v7, v16, v17
	v_add_f16_e32 v16, v12, v16
	v_fma_f16 v4, v24, v25, -v31
	v_fmac_f16_e32 v12, -0.5, v15
	v_sub_f16_e32 v15, v32, v28
	v_fma_f16 v3, v19, v27, -v3
	v_fmamk_f16 v19, v7, 0xbaee, v0
	v_fmac_f16_e32 v0, 0x3aee, v7
	v_add_f16_e32 v7, v16, v17
	v_add_f16_e32 v16, v29, v30
	v_lshrrev_b32_e32 v14, 16, v1
	v_fmamk_f16 v17, v15, 0x3aee, v12
	v_fmac_f16_e32 v12, 0xbaee, v15
	v_add_f16_e32 v15, v18, v4
	v_add_f16_e32 v20, v1, v29
	v_fmac_f16_e32 v1, -0.5, v16
	v_sub_f16_e32 v16, v18, v4
	v_add_f16_e32 v18, v14, v18
	v_fmac_f16_e32 v14, -0.5, v15
	v_sub_f16_e32 v15, v29, v30
	v_lshrrev_b32_e32 v26, 16, v2
	v_fmamk_f16 v21, v16, 0xbaee, v1
	v_fmac_f16_e32 v1, 0x3aee, v16
	v_add_f16_e32 v16, v33, v5
	v_add_f16_e32 v4, v18, v4
	v_fmamk_f16 v18, v15, 0x3aee, v14
	v_fmac_f16_e32 v14, 0xbaee, v15
	v_add_f16_e32 v15, v3, v6
	v_add_f16_e32 v22, v2, v33
	v_fmac_f16_e32 v2, -0.5, v16
	v_sub_f16_e32 v16, v3, v6
	v_add_f16_e32 v3, v26, v3
	v_fmac_f16_e32 v26, -0.5, v15
	v_sub_f16_e32 v15, v33, v5
	v_add_f16_e32 v11, v11, v28
	v_add_f16_e32 v20, v20, v30
	;; [unrolled: 1-line block ×4, first 2 shown]
	v_fmamk_f16 v22, v16, 0xbaee, v2
	v_fmamk_f16 v6, v15, 0x3aee, v26
	v_fmac_f16_e32 v2, 0x3aee, v16
	v_fmac_f16_e32 v26, 0xbaee, v15
	v_pack_b32_f16 v7, v11, v7
	v_pack_b32_f16 v4, v20, v4
	;; [unrolled: 1-line block ×9, first 2 shown]
	ds_write2_b32 v40, v7, v4 offset1:182
	ds_write2_b32 v13, v0, v1 offset0:68 offset1:250
	ds_write2_b32 v9, v3, v11 offset0:44 offset1:226
	;; [unrolled: 1-line block ×3, first 2 shown]
	ds_write_b32 v40, v2 offset:5824
	s_waitcnt lgkmcnt(0)
	s_barrier
	buffer_gl0_inv
	s_and_b32 exec_lo, exec_lo, vcc_lo
	s_cbranch_execz .LBB0_31
; %bb.30:
	s_clause 0x4
	global_load_dword v14, v40, s[14:15]
	global_load_dword v15, v40, s[14:15] offset:504
	global_load_dword v18, v40, s[14:15] offset:1008
	;; [unrolled: 1-line block ×4, first 2 shown]
	v_add_co_u32 v1, s0, s14, v40
	v_add_co_ci_u32_e64 v19, null, s15, 0, s0
	v_mad_u64_u32 v[11:12], null, s6, v8, 0
	v_add_co_u32 v16, vcc_lo, 0x800, v1
	v_add_co_ci_u32_e32 v17, vcc_lo, 0, v19, vcc_lo
	v_mad_u64_u32 v[9:10], null, s4, v41, 0
	v_mov_b32_e32 v0, v12
	global_load_dword v24, v[16:17], off offset:472
	ds_read_b32 v25, v40
	ds_read2_b32 v[4:5], v40 offset0:126 offset1:252
	v_add_nc_u32_e32 v2, 0x400, v40
	v_mad_u64_u32 v[26:27], null, s7, v8, v[0:1]
	v_mov_b32_e32 v8, v10
	v_add_nc_u32_e32 v3, 0x800, v40
	ds_read2_b32 v[6:7], v2 offset0:122 offset1:248
	ds_read2_b32 v[2:3], v3 offset0:118 offset1:244
	v_mad_u64_u32 v[27:28], null, s5, v41, v[8:9]
	v_mov_b32_e32 v12, v26
	v_add_co_u32 v0, vcc_lo, 0x1000, v1
	v_add_co_ci_u32_e32 v1, vcc_lo, 0, v19, vcc_lo
	v_lshlrev_b64 v[11:12], 2, v[11:12]
	v_mov_b32_e32 v10, v27
	s_waitcnt lgkmcnt(3)
	v_lshrrev_b32_e32 v26, 16, v25
	s_waitcnt lgkmcnt(2)
	v_lshrrev_b32_e32 v28, 16, v4
	v_lshrrev_b32_e32 v27, 16, v5
	s_mov_b32 s20, 0x14014014
	v_lshlrev_b64 v[9:10], 2, v[9:10]
	v_add_co_u32 v11, vcc_lo, s12, v11
	v_add_co_ci_u32_e32 v12, vcc_lo, s13, v12, vcc_lo
	s_waitcnt lgkmcnt(1)
	v_lshrrev_b32_e32 v29, 16, v6
	v_add_co_u32 v9, vcc_lo, v11, v9
	v_add_co_ci_u32_e32 v10, vcc_lo, v12, v10, vcc_lo
	v_lshrrev_b32_e32 v30, 16, v7
	s_waitcnt lgkmcnt(0)
	v_lshrrev_b32_e32 v39, 16, v2
	s_mov_b32 s21, 0x3f440140
	s_mul_i32 s0, s5, 0x1f8
	s_mul_hi_u32 s22, s4, 0x1f8
	s_mul_i32 s19, s4, 0x1f8
	s_add_i32 s22, s22, s0
	v_add_co_u32 v41, vcc_lo, v9, s19
	v_add_co_ci_u32_e32 v42, vcc_lo, s22, v10, vcc_lo
	s_clause 0x5
	global_load_dword v23, v[16:17], off offset:976
	global_load_dword v21, v[16:17], off offset:1480
	;; [unrolled: 1-line block ×6, first 2 shown]
	v_add_co_u32 v43, vcc_lo, v41, s19
	v_add_co_ci_u32_e32 v44, vcc_lo, s22, v42, vcc_lo
	s_waitcnt vmcnt(11)
	v_mul_f16_sdwa v11, v26, v14 dst_sel:DWORD dst_unused:UNUSED_PAD src0_sel:DWORD src1_sel:WORD_1
	v_mul_f16_sdwa v12, v25, v14 dst_sel:DWORD dst_unused:UNUSED_PAD src0_sel:DWORD src1_sel:WORD_1
	s_waitcnt vmcnt(10)
	v_mul_f16_sdwa v31, v28, v15 dst_sel:DWORD dst_unused:UNUSED_PAD src0_sel:DWORD src1_sel:WORD_1
	v_mul_f16_sdwa v32, v4, v15 dst_sel:DWORD dst_unused:UNUSED_PAD src0_sel:DWORD src1_sel:WORD_1
	s_waitcnt vmcnt(9)
	v_mul_f16_sdwa v33, v27, v18 dst_sel:DWORD dst_unused:UNUSED_PAD src0_sel:DWORD src1_sel:WORD_1
	v_fmac_f16_e32 v11, v25, v14
	s_waitcnt vmcnt(8)
	v_mul_f16_sdwa v35, v29, v20 dst_sel:DWORD dst_unused:UNUSED_PAD src0_sel:DWORD src1_sel:WORD_1
	v_fma_f16 v12, v14, v26, -v12
	v_fmac_f16_e32 v31, v4, v15
	v_mul_f16_sdwa v34, v5, v18 dst_sel:DWORD dst_unused:UNUSED_PAD src0_sel:DWORD src1_sel:WORD_1
	v_cvt_f32_f16_e32 v4, v11
	v_mul_f16_sdwa v36, v6, v20 dst_sel:DWORD dst_unused:UNUSED_PAD src0_sel:DWORD src1_sel:WORD_1
	s_waitcnt vmcnt(7)
	v_mul_f16_sdwa v37, v30, v22 dst_sel:DWORD dst_unused:UNUSED_PAD src0_sel:DWORD src1_sel:WORD_1
	v_fmac_f16_e32 v33, v5, v18
	v_fmac_f16_e32 v35, v6, v20
	v_cvt_f32_f16_e32 v6, v12
	v_cvt_f64_f32_e32 v[4:5], v4
	v_mul_f16_sdwa v38, v7, v22 dst_sel:DWORD dst_unused:UNUSED_PAD src0_sel:DWORD src1_sel:WORD_1
	v_fma_f16 v14, v15, v28, -v32
	v_fmac_f16_e32 v37, v7, v22
	v_cvt_f32_f16_e32 v11, v31
	v_cvt_f64_f32_e32 v[6:7], v6
	v_fma_f16 v15, v18, v27, -v34
	v_cvt_f32_f16_e32 v14, v14
	v_fma_f16 v18, v20, v29, -v36
	v_cvt_f64_f32_e32 v[11:12], v11
	v_fma_f16 v20, v22, v30, -v38
	v_cvt_f32_f16_e32 v22, v33
	v_cvt_f32_f16_e32 v27, v15
	v_cvt_f64_f32_e32 v[14:15], v14
	s_waitcnt vmcnt(6)
	v_mul_f16_sdwa v30, v39, v24 dst_sel:DWORD dst_unused:UNUSED_PAD src0_sel:DWORD src1_sel:WORD_1
	v_cvt_f32_f16_e32 v29, v35
	v_cvt_f64_f32_e32 v[25:26], v22
	v_cvt_f64_f32_e32 v[27:28], v27
	v_cvt_f32_f16_e32 v18, v18
	v_fmac_f16_e32 v30, v2, v24
	v_mul_f16_sdwa v2, v2, v24 dst_sel:DWORD dst_unused:UNUSED_PAD src0_sel:DWORD src1_sel:WORD_1
	v_cvt_f32_f16_e32 v33, v37
	v_mul_f64 v[4:5], v[4:5], s[20:21]
	v_cvt_f64_f32_e32 v[31:32], v18
	v_cvt_f32_f16_e32 v22, v30
	v_cvt_f64_f32_e32 v[29:30], v29
	v_fma_f16 v2, v24, v39, -v2
	v_mul_f64 v[6:7], v[6:7], s[20:21]
	v_cvt_f32_f16_e32 v20, v20
	v_cvt_f64_f32_e32 v[33:34], v33
	v_cvt_f64_f32_e32 v[37:38], v22
	v_mul_f64 v[11:12], v[11:12], s[20:21]
	v_cvt_f32_f16_e32 v2, v2
	v_cvt_f64_f32_e32 v[35:36], v20
	v_mul_f64 v[14:15], v[14:15], s[20:21]
	v_cvt_f64_f32_e32 v[45:46], v2
	v_mul_f64 v[24:25], v[25:26], s[20:21]
	v_mul_f64 v[26:27], v[27:28], s[20:21]
	v_and_or_b32 v2, 0x1ff, v5, v4
	v_lshrrev_b32_e32 v4, 8, v5
	v_bfe_u32 v18, v5, 20, 11
	v_mul_f64 v[28:29], v[29:30], s[20:21]
	v_mul_f64 v[30:31], v[31:32], s[20:21]
	v_and_or_b32 v6, 0x1ff, v7, v6
	v_cmp_ne_u32_e32 vcc_lo, 0, v2
	v_mul_f64 v[32:33], v[33:34], s[20:21]
	v_lshrrev_b32_e32 v20, 8, v7
	v_and_or_b32 v11, 0x1ff, v12, v11
	v_bfe_u32 v22, v7, 20, 11
	v_cndmask_b32_e64 v2, 0, 1, vcc_lo
	v_cmp_ne_u32_e32 vcc_lo, 0, v6
	v_and_or_b32 v14, 0x1ff, v15, v14
	v_mul_f64 v[34:35], v[35:36], s[20:21]
	v_mul_f64 v[36:37], v[37:38], s[20:21]
	v_and_or_b32 v24, 0x1ff, v25, v24
	v_cndmask_b32_e64 v6, 0, 1, vcc_lo
	v_cmp_ne_u32_e32 vcc_lo, 0, v11
	v_and_or_b32 v26, 0x1ff, v27, v26
	v_and_or_b32 v2, 0xffe, v4, v2
	v_lshrrev_b32_e32 v38, 8, v12
	v_bfe_u32 v39, v12, 20, 11
	v_cndmask_b32_e64 v11, 0, 1, vcc_lo
	v_cmp_ne_u32_e32 vcc_lo, 0, v14
	v_and_or_b32 v28, 0x1ff, v29, v28
	v_and_or_b32 v30, 0x1ff, v31, v30
	v_bfe_u32 v48, v15, 20, 11
	v_sub_nc_u32_e32 v61, 0x3f1, v18
	v_cndmask_b32_e64 v14, 0, 1, vcc_lo
	v_cmp_ne_u32_e32 vcc_lo, 0, v24
	v_and_or_b32 v32, 0x1ff, v33, v32
	v_add_nc_u32_e32 v18, 0xfffffc10, v18
	v_sub_nc_u32_e32 v62, 0x3f1, v22
	v_and_or_b32 v6, 0xffe, v20, v6
	v_cndmask_b32_e64 v24, 0, 1, vcc_lo
	v_cmp_ne_u32_e32 vcc_lo, 0, v26
	v_and_or_b32 v34, 0x1ff, v35, v34
	v_lshrrev_b32_e32 v47, 8, v15
	v_bfe_u32 v50, v25, 20, 11
	v_bfe_u32 v52, v27, 20, 11
	v_cndmask_b32_e64 v26, 0, 1, vcc_lo
	v_cmp_ne_u32_e32 vcc_lo, 0, v28
	v_add_nc_u32_e32 v22, 0xfffffc10, v22
	v_sub_nc_u32_e32 v63, 0x3f1, v39
	v_sub_nc_u32_e32 v64, 0x3f1, v48
	v_med3_i32 v4, v61, 0, 13
	v_cndmask_b32_e64 v28, 0, 1, vcc_lo
	v_cmp_ne_u32_e32 vcc_lo, 0, v30
	v_med3_i32 v20, v62, 0, 13
	v_and_or_b32 v11, 0xffe, v38, v11
	v_or_b32_e32 v61, 0x1000, v2
	v_lshl_or_b32 v62, v18, 12, v2
	v_cndmask_b32_e64 v30, 0, 1, vcc_lo
	v_cmp_ne_u32_e32 vcc_lo, 0, v32
	v_lshrrev_b32_e32 v49, 8, v25
	v_lshrrev_b32_e32 v51, 8, v27
	v_bfe_u32 v54, v29, 20, 11
	v_bfe_u32 v56, v31, 20, 11
	v_cndmask_b32_e64 v32, 0, 1, vcc_lo
	v_cmp_ne_u32_e32 vcc_lo, 0, v34
	v_add_nc_u32_e32 v39, 0xfffffc10, v39
	v_sub_nc_u32_e32 v65, 0x3f1, v50
	v_sub_nc_u32_e32 v66, 0x3f1, v52
	v_med3_i32 v38, v63, 0, 13
	v_cndmask_b32_e64 v34, 0, 1, vcc_lo
	v_cmp_ne_u32_e32 vcc_lo, 0, v2
	v_and_or_b32 v14, 0xffe, v47, v14
	v_med3_i32 v47, v64, 0, 13
	v_or_b32_e32 v63, 0x1000, v6
	v_lshl_or_b32 v64, v22, 12, v6
	v_cndmask_b32_e64 v2, 0, 1, vcc_lo
	v_cmp_ne_u32_e32 vcc_lo, 0, v6
	v_lshrrev_b32_e32 v53, 8, v29
	v_lshrrev_b32_e32 v55, 8, v31
	v_bfe_u32 v58, v33, 20, 11
	v_bfe_u32 v60, v35, 20, 11
	v_cndmask_b32_e64 v6, 0, 1, vcc_lo
	v_cmp_ne_u32_e32 vcc_lo, 0, v11
	v_add_nc_u32_e32 v48, 0xfffffc10, v48
	v_sub_nc_u32_e32 v67, 0x3f1, v54
	v_sub_nc_u32_e32 v68, 0x3f1, v56
	v_and_or_b32 v24, 0xffe, v49, v24
	v_med3_i32 v49, v65, 0, 13
	v_and_or_b32 v26, 0xffe, v51, v26
	v_med3_i32 v51, v66, 0, 13
	v_or_b32_e32 v65, 0x1000, v11
	v_lshl_or_b32 v66, v39, 12, v11
	v_cndmask_b32_e64 v11, 0, 1, vcc_lo
	v_cmp_ne_u32_e32 vcc_lo, 0, v14
	v_lshrrev_b32_e32 v57, 8, v33
	v_lshrrev_b32_e32 v59, 8, v35
	v_add_nc_u32_e32 v50, 0xfffffc10, v50
	v_sub_nc_u32_e32 v69, 0x3f1, v58
	v_sub_nc_u32_e32 v70, 0x3f1, v60
	v_and_or_b32 v28, 0xffe, v53, v28
	v_med3_i32 v53, v67, 0, 13
	v_and_or_b32 v30, 0xffe, v55, v30
	v_med3_i32 v55, v68, 0, 13
	v_or_b32_e32 v67, 0x1000, v14
	v_lshl_or_b32 v68, v48, 12, v14
	v_cndmask_b32_e64 v14, 0, 1, vcc_lo
	v_cmp_ne_u32_e32 vcc_lo, 0, v24
	v_add_nc_u32_e32 v52, 0xfffffc10, v52
	v_and_or_b32 v32, 0xffe, v57, v32
	v_med3_i32 v57, v69, 0, 13
	v_and_or_b32 v34, 0xffe, v59, v34
	v_med3_i32 v59, v70, 0, 13
	v_or_b32_e32 v69, 0x1000, v24
	v_lshl_or_b32 v70, v50, 12, v24
	v_cndmask_b32_e64 v24, 0, 1, vcc_lo
	v_cmp_ne_u32_e32 vcc_lo, 0, v26
	v_add_nc_u32_e32 v54, 0xfffffc10, v54
	v_or_b32_e32 v71, 0x1000, v26
	v_lshl_or_b32 v72, v52, 12, v26
	v_add_nc_u32_e32 v56, 0xfffffc10, v56
	v_cndmask_b32_e64 v26, 0, 1, vcc_lo
	v_cmp_ne_u32_e32 vcc_lo, 0, v28
	v_or_b32_e32 v73, 0x1000, v28
	v_lshl_or_b32 v74, v54, 12, v28
	v_lshrrev_b32_e32 v81, v4, v61
	v_add_nc_u32_e32 v58, 0xfffffc10, v58
	v_cndmask_b32_e64 v28, 0, 1, vcc_lo
	v_cmp_ne_u32_e32 vcc_lo, 0, v30
	v_or_b32_e32 v75, 0x1000, v30
	v_lshl_or_b32 v76, v56, 12, v30
	v_lshrrev_b32_e32 v82, v20, v63
	v_lshlrev_b32_e32 v4, v4, v81
	v_cndmask_b32_e64 v30, 0, 1, vcc_lo
	v_cmp_ne_u32_e32 vcc_lo, 0, v32
	v_or_b32_e32 v77, 0x1000, v32
	v_lshl_or_b32 v78, v58, 12, v32
	v_lshrrev_b32_e32 v83, v38, v65
	v_lshlrev_b32_e32 v20, v20, v82
	v_cndmask_b32_e64 v32, 0, 1, vcc_lo
	v_cmp_ne_u32_e32 vcc_lo, v4, v61
	v_lshrrev_b32_e32 v84, v47, v67
	v_lshlrev_b32_e32 v38, v38, v83
	v_lshrrev_b32_e32 v85, v49, v69
	v_lshrrev_b32_e32 v86, v51, v71
	v_cndmask_b32_e64 v4, 0, 1, vcc_lo
	v_cmp_ne_u32_e32 vcc_lo, v20, v63
	v_lshlrev_b32_e32 v47, v47, v84
	v_lshlrev_b32_e32 v49, v49, v85
	v_lshrrev_b32_e32 v87, v53, v73
	v_lshlrev_b32_e32 v51, v51, v86
	v_cndmask_b32_e64 v20, 0, 1, vcc_lo
	v_cmp_ne_u32_e32 vcc_lo, v38, v65
	v_lshrrev_b32_e32 v88, v55, v75
	v_lshlrev_b32_e32 v53, v53, v87
	v_or_b32_e32 v79, 0x1000, v34
	v_lshrrev_b32_e32 v89, v57, v77
	v_cndmask_b32_e64 v38, 0, 1, vcc_lo
	v_cmp_ne_u32_e32 vcc_lo, v47, v67
	v_lshlrev_b32_e32 v55, v55, v88
	v_lshrrev_b32_e32 v90, v59, v79
	v_lshlrev_b32_e32 v57, v57, v89
	v_or_b32_e32 v4, v81, v4
	v_cndmask_b32_e64 v47, 0, 1, vcc_lo
	v_cmp_ne_u32_e32 vcc_lo, v49, v69
	v_lshlrev_b32_e32 v59, v59, v90
	v_or_b32_e32 v20, v82, v20
	v_or_b32_e32 v38, v83, v38
	;; [unrolled: 1-line block ×3, first 2 shown]
	v_cndmask_b32_e64 v49, 0, 1, vcc_lo
	v_cmp_ne_u32_e32 vcc_lo, v51, v71
	v_add_nc_u32_e32 v60, 0xfffffc10, v60
	v_lshl_or_b32 v2, v2, 9, 0x7c00
	v_lshl_or_b32 v6, v6, 9, 0x7c00
	v_or_b32_e32 v49, v85, v49
	v_cndmask_b32_e64 v51, 0, 1, vcc_lo
	v_cmp_ne_u32_e32 vcc_lo, v53, v73
	v_lshl_or_b32 v80, v60, 12, v34
	v_lshl_or_b32 v11, v11, 9, 0x7c00
	;; [unrolled: 1-line block ×3, first 2 shown]
	v_or_b32_e32 v51, v86, v51
	v_cndmask_b32_e64 v53, 0, 1, vcc_lo
	v_cmp_ne_u32_e32 vcc_lo, v55, v75
	v_lshl_or_b32 v24, v24, 9, 0x7c00
	v_lshl_or_b32 v26, v26, 9, 0x7c00
	v_lshrrev_b32_e32 v5, 16, v5
	v_or_b32_e32 v53, v87, v53
	v_cndmask_b32_e64 v55, 0, 1, vcc_lo
	v_cmp_ne_u32_e32 vcc_lo, v57, v77
	v_lshrrev_b32_e32 v12, 16, v12
	v_lshl_or_b32 v28, v28, 9, 0x7c00
	v_lshrrev_b32_e32 v7, 16, v7
	v_or_b32_e32 v55, v88, v55
	v_cndmask_b32_e64 v57, 0, 1, vcc_lo
	v_cmp_ne_u32_e32 vcc_lo, v59, v79
	v_lshrrev_b32_e32 v15, 16, v15
	v_lshl_or_b32 v30, v30, 9, 0x7c00
	v_lshrrev_b32_e32 v25, 16, v25
	v_or_b32_e32 v57, v89, v57
	v_cndmask_b32_e64 v59, 0, 1, vcc_lo
	v_cmp_gt_i32_e32 vcc_lo, 1, v18
	v_lshl_or_b32 v32, v32, 9, 0x7c00
	v_lshrrev_b32_e32 v27, 16, v27
	v_lshrrev_b32_e32 v29, 16, v29
	v_or_b32_e32 v59, v90, v59
	v_cndmask_b32_e32 v4, v62, v4, vcc_lo
	v_cmp_gt_i32_e32 vcc_lo, 1, v22
	v_lshrrev_b32_e32 v31, 16, v31
	v_and_b32_e32 v61, 7, v4
	v_cndmask_b32_e32 v20, v64, v20, vcc_lo
	v_cmp_gt_i32_e32 vcc_lo, 1, v39
	v_lshrrev_b32_e32 v4, 2, v4
	v_cmp_eq_u32_e64 s0, 3, v61
	v_and_b32_e32 v62, 7, v20
	v_cndmask_b32_e32 v38, v66, v38, vcc_lo
	v_cmp_gt_i32_e32 vcc_lo, 1, v48
	v_lshrrev_b32_e32 v20, 2, v20
	v_cmp_lt_i32_e64 s1, 5, v62
	v_and_b32_e32 v63, 7, v38
	v_cndmask_b32_e32 v47, v68, v47, vcc_lo
	v_cmp_gt_i32_e32 vcc_lo, 1, v50
	v_cmp_eq_u32_e64 s2, 3, v62
	v_lshrrev_b32_e32 v38, 2, v38
	v_cmp_lt_i32_e64 s3, 5, v63
	v_and_b32_e32 v64, 7, v47
	v_cndmask_b32_e32 v49, v70, v49, vcc_lo
	v_cmp_gt_i32_e32 vcc_lo, 1, v52
	v_cmp_eq_u32_e64 s4, 3, v63
	;; [unrolled: 6-line block ×6, first 2 shown]
	v_lshrrev_b32_e32 v55, 2, v55
	v_cmp_lt_i32_e64 s13, 5, v68
	v_and_b32_e32 v69, 7, v57
	v_cndmask_b32_e32 v59, v80, v59, vcc_lo
	v_cmp_lt_i32_e32 vcc_lo, 5, v61
	v_cmp_eq_u32_e64 s14, 3, v68
	v_lshrrev_b32_e32 v57, 2, v57
	v_cmp_lt_i32_e64 s15, 5, v69
	v_cmp_eq_u32_e64 s16, 3, v69
	s_or_b32 vcc_lo, s0, vcc_lo
	v_and_b32_e32 v70, 7, v59
	v_add_co_ci_u32_e32 v4, vcc_lo, 0, v4, vcc_lo
	s_or_b32 vcc_lo, s2, s1
	v_add_co_ci_u32_e32 v20, vcc_lo, 0, v20, vcc_lo
	s_or_b32 vcc_lo, s4, s3
	v_cmp_lt_i32_e64 s17, 5, v70
	v_add_co_ci_u32_e32 v38, vcc_lo, 0, v38, vcc_lo
	s_or_b32 vcc_lo, s6, s5
	v_cmp_eq_u32_e64 s18, 3, v70
	v_add_co_ci_u32_e32 v47, vcc_lo, 0, v47, vcc_lo
	s_or_b32 vcc_lo, s8, s7
	v_add_co_ci_u32_e32 v49, vcc_lo, 0, v49, vcc_lo
	s_or_b32 vcc_lo, s10, s9
	v_add_co_ci_u32_e32 v51, vcc_lo, 0, v51, vcc_lo
	s_or_b32 vcc_lo, s12, s11
	v_add_co_ci_u32_e32 v53, vcc_lo, 0, v53, vcc_lo
	s_or_b32 vcc_lo, s14, s13
	v_add_co_ci_u32_e32 v55, vcc_lo, 0, v55, vcc_lo
	s_or_b32 vcc_lo, s16, s15
	v_add_co_ci_u32_e32 v57, vcc_lo, 0, v57, vcc_lo
	v_cmp_gt_i32_e32 vcc_lo, 31, v18
	v_cndmask_b32_e32 v4, 0x7c00, v4, vcc_lo
	v_cmp_gt_i32_e32 vcc_lo, 31, v22
	v_cndmask_b32_e32 v20, 0x7c00, v20, vcc_lo
	;; [unrolled: 2-line block ×8, first 2 shown]
	v_cmp_eq_u32_e32 vcc_lo, 0x40f, v18
	v_cndmask_b32_e32 v2, v4, v2, vcc_lo
	v_cmp_eq_u32_e32 vcc_lo, 0x40f, v22
	v_and_or_b32 v2, 0x8000, v5, v2
	v_cndmask_b32_e32 v4, v20, v6, vcc_lo
	v_cmp_eq_u32_e32 vcc_lo, 0x40f, v39
	v_and_b32_e32 v2, 0xffff, v2
	v_and_or_b32 v4, 0x8000, v7, v4
	v_cndmask_b32_e32 v6, v38, v11, vcc_lo
	v_cmp_eq_u32_e32 vcc_lo, 0x40f, v48
	v_lshl_or_b32 v2, v4, 16, v2
	v_and_or_b32 v5, 0x8000, v12, v6
	v_cndmask_b32_e32 v11, v47, v14, vcc_lo
	v_cmp_eq_u32_e32 vcc_lo, 0x40f, v50
	v_and_b32_e32 v5, 0xffff, v5
	v_and_or_b32 v6, 0x8000, v15, v11
	v_cndmask_b32_e32 v14, v49, v24, vcc_lo
	v_cmp_eq_u32_e32 vcc_lo, 0x40f, v52
	v_lshrrev_b32_e32 v24, 16, v35
	v_lshl_or_b32 v4, v6, 16, v5
	global_store_dword v[9:10], v2, off
	global_store_dword v[41:42], v4, off
	v_cndmask_b32_e32 v18, v51, v26, vcc_lo
	v_cmp_eq_u32_e32 vcc_lo, 0x40f, v54
	v_lshrrev_b32_e32 v4, 2, v59
	v_and_or_b32 v7, 0x8000, v25, v14
	v_lshrrev_b32_e32 v10, 8, v37
	v_and_or_b32 v11, 0x8000, v27, v18
	v_cndmask_b32_e32 v20, v53, v28, vcc_lo
	v_cmp_eq_u32_e32 vcc_lo, 0x40f, v56
	v_and_b32_e32 v7, 0xffff, v7
	v_lshrrev_b32_e32 v9, 16, v33
	v_and_or_b32 v12, 0x8000, v29, v20
	v_cndmask_b32_e32 v22, v55, v30, vcc_lo
	v_cmp_gt_i32_e32 vcc_lo, 31, v58
	v_lshl_or_b32 v15, v11, 16, v7
	v_bfe_u32 v11, v37, 20, 11
	v_and_b32_e32 v12, 0xffff, v12
	v_and_or_b32 v14, 0x8000, v31, v22
	v_cndmask_b32_e32 v5, 0x7c00, v57, vcc_lo
	v_cmp_eq_u32_e32 vcc_lo, 0x40f, v58
	v_lshrrev_b32_e32 v22, 16, v3
	v_lshl_or_b32 v14, v14, 16, v12
	v_cndmask_b32_e32 v2, v5, v32, vcc_lo
	v_and_or_b32 v5, 0x1ff, v37, v36
	s_or_b32 vcc_lo, s18, s17
	s_waitcnt vmcnt(5)
	v_mul_f16_sdwa v26, v22, v23 dst_sel:DWORD dst_unused:UNUSED_PAD src0_sel:DWORD src1_sel:WORD_1
	v_add_co_ci_u32_e32 v6, vcc_lo, 0, v4, vcc_lo
	v_cmp_ne_u32_e32 vcc_lo, 0, v5
	v_mul_f64 v[4:5], v[45:46], s[20:21]
	v_fmac_f16_e32 v26, v3, v23
	v_and_or_b32 v2, 0x8000, v9, v2
	v_cndmask_b32_e64 v7, 0, 1, vcc_lo
	v_cmp_ne_u32_e32 vcc_lo, 0, v34
	v_cvt_f32_f16_e32 v9, v26
	v_and_b32_e32 v2, 0xffff, v2
	v_and_or_b32 v18, 0xffe, v10, v7
	v_cndmask_b32_e64 v12, 0, 1, vcc_lo
	v_sub_nc_u32_e32 v7, 0x3f1, v11
	v_cmp_gt_i32_e32 vcc_lo, 31, v60
	v_lshl_or_b32 v10, v12, 9, 0x7c00
	v_or_b32_e32 v12, 0x1000, v18
	v_med3_i32 v20, v7, 0, 13
	v_cndmask_b32_e32 v6, 0x7c00, v6, vcc_lo
	v_cmp_eq_u32_e32 vcc_lo, 0x40f, v60
	v_lshrrev_b32_e32 v25, v20, v12
	v_and_or_b32 v4, 0x1ff, v5, v4
	v_cndmask_b32_e32 v10, v6, v10, vcc_lo
	v_add_co_u32 v6, vcc_lo, v43, s19
	v_lshlrev_b32_e32 v20, v20, v25
	v_add_co_ci_u32_e32 v7, vcc_lo, s22, v44, vcc_lo
	v_and_or_b32 v24, 0x8000, v24, v10
	v_cvt_f64_f32_e32 v[9:10], v9
	v_cmp_ne_u32_e32 vcc_lo, v20, v12
	v_add_nc_u32_e32 v20, 0xfffffc10, v11
	v_lshrrev_b32_e32 v11, 8, v5
	v_bfe_u32 v26, v5, 20, 11
	v_lshl_or_b32 v2, v24, 16, v2
	v_cndmask_b32_e64 v12, 0, 1, vcc_lo
	v_cmp_ne_u32_e32 vcc_lo, 0, v4
	global_store_dword v[43:44], v15, off
	global_store_dword v[6:7], v14, off
	v_mul_f16_sdwa v14, v3, v23 dst_sel:DWORD dst_unused:UNUSED_PAD src0_sel:DWORD src1_sel:WORD_1
	v_add_nc_u32_e32 v15, 0xc00, v40
	v_or_b32_e32 v12, v25, v12
	v_cndmask_b32_e64 v4, 0, 1, vcc_lo
	v_lshl_or_b32 v25, v20, 12, v18
	v_cmp_gt_i32_e32 vcc_lo, 1, v20
	v_lshrrev_b32_e32 v5, 16, v5
	v_and_or_b32 v4, 0xffe, v11, v4
	v_sub_nc_u32_e32 v11, 0x3f1, v26
	v_cndmask_b32_e32 v24, v25, v12, vcc_lo
	v_or_b32_e32 v25, 0x1000, v4
	v_med3_i32 v27, v11, 0, 13
	v_add_co_u32 v11, vcc_lo, v6, s19
	v_add_co_ci_u32_e32 v12, vcc_lo, s22, v7, vcc_lo
	v_lshrrev_b32_e32 v6, v27, v25
	v_and_b32_e32 v7, 7, v24
	global_store_dword v[11:12], v2, off
	v_mul_f64 v[2:3], v[9:10], s[20:21]
	v_lshlrev_b32_e32 v9, v27, v6
	v_cmp_lt_i32_e32 vcc_lo, 5, v7
	v_cmp_eq_u32_e64 s0, 3, v7
	v_fma_f16 v7, v23, v22, -v14
	v_lshrrev_b32_e32 v10, 2, v24
	v_cmp_ne_u32_e64 s1, v9, v25
	v_add_nc_u32_e32 v14, 0xfffffc10, v26
	s_or_b32 vcc_lo, s0, vcc_lo
	v_cvt_f32_f16_e32 v7, v7
	v_add_co_ci_u32_e32 v22, vcc_lo, 0, v10, vcc_lo
	v_cndmask_b32_e64 v9, 0, 1, s1
	v_cmp_ne_u32_e32 vcc_lo, 0, v18
	v_lshl_or_b32 v24, v14, 12, v4
	v_or_b32_e32 v23, v6, v9
	v_cvt_f64_f32_e32 v[6:7], v7
	ds_read2_b32 v[9:10], v15 offset0:114 offset1:240
	v_cndmask_b32_e64 v15, 0, 1, vcc_lo
	v_cmp_gt_i32_e32 vcc_lo, 1, v14
	v_and_or_b32 v2, 0x1ff, v3, v2
	v_bfe_u32 v25, v3, 20, 11
	v_lshl_or_b32 v15, v15, 9, 0x7c00
	v_cndmask_b32_e32 v18, v24, v23, vcc_lo
	v_cmp_gt_i32_e32 vcc_lo, 31, v20
	v_lshrrev_b32_e32 v24, 8, v3
	v_lshrrev_b32_e32 v3, 16, v3
	v_and_b32_e32 v23, 7, v18
	v_cndmask_b32_e32 v22, 0x7c00, v22, vcc_lo
	v_cmp_ne_u32_e32 vcc_lo, 0, v2
	v_lshrrev_b32_e32 v18, 2, v18
	v_cmp_eq_u32_e64 s0, 3, v23
	v_cndmask_b32_e64 v2, 0, 1, vcc_lo
	v_cmp_eq_u32_e32 vcc_lo, 0x40f, v20
	v_mul_f64 v[6:7], v[6:7], s[20:21]
	v_lshrrev_b32_e32 v20, 16, v37
	v_and_or_b32 v2, 0xffe, v24, v2
	v_cndmask_b32_e32 v15, v22, v15, vcc_lo
	v_cmp_lt_i32_e32 vcc_lo, 5, v23
	v_sub_nc_u32_e32 v22, 0x3f1, v25
	s_waitcnt lgkmcnt(0)
	v_lshrrev_b32_e32 v24, 16, v9
	v_or_b32_e32 v23, 0x1000, v2
	v_and_or_b32 v20, 0x8000, v20, v15
	s_or_b32 vcc_lo, s0, vcc_lo
	v_med3_i32 v22, v22, 0, 13
	v_add_co_ci_u32_e32 v18, vcc_lo, 0, v18, vcc_lo
	v_cmp_ne_u32_e32 vcc_lo, 0, v4
	s_waitcnt vmcnt(4)
	v_mul_f16_sdwa v26, v24, v21 dst_sel:DWORD dst_unused:UNUSED_PAD src0_sel:DWORD src1_sel:WORD_1
	v_lshrrev_b32_e32 v27, v22, v23
	v_and_b32_e32 v20, 0xffff, v20
	v_cndmask_b32_e64 v4, 0, 1, vcc_lo
	v_cmp_gt_i32_e32 vcc_lo, 31, v14
	v_fmac_f16_e32 v26, v9, v21
	v_lshlrev_b32_e32 v22, v22, v27
	v_and_or_b32 v6, 0x1ff, v7, v6
	v_lshl_or_b32 v4, v4, 9, 0x7c00
	v_cndmask_b32_e32 v18, 0x7c00, v18, vcc_lo
	v_cmp_eq_u32_e32 vcc_lo, 0x40f, v14
	v_cvt_f32_f16_e32 v26, v26
	v_mul_f16_sdwa v9, v9, v21 dst_sel:DWORD dst_unused:UNUSED_PAD src0_sel:DWORD src1_sel:WORD_1
	v_cndmask_b32_e32 v4, v18, v4, vcc_lo
	v_cmp_ne_u32_e32 vcc_lo, v22, v23
	v_cvt_f64_f32_e32 v[14:15], v26
	v_add_nc_u32_e32 v22, 0xfffffc10, v25
	v_lshrrev_b32_e32 v23, 8, v7
	v_bfe_u32 v25, v7, 20, 11
	v_cndmask_b32_e64 v18, 0, 1, vcc_lo
	v_cmp_ne_u32_e32 vcc_lo, 0, v6
	v_and_or_b32 v4, 0x8000, v5, v4
	v_fma_f16 v9, v21, v24, -v9
	v_lshrrev_b32_e32 v7, 16, v7
	v_or_b32_e32 v5, v27, v18
	v_cndmask_b32_e64 v6, 0, 1, vcc_lo
	v_lshl_or_b32 v18, v22, 12, v2
	v_cmp_gt_i32_e32 vcc_lo, 1, v22
	v_lshl_or_b32 v20, v4, 16, v20
	v_cvt_f32_f16_e32 v9, v9
	v_and_or_b32 v6, 0xffe, v23, v6
	v_sub_nc_u32_e32 v23, 0x3f1, v25
	v_cndmask_b32_e32 v18, v18, v5, vcc_lo
	v_add_co_u32 v11, vcc_lo, v11, s19
	v_or_b32_e32 v26, 0x1000, v6
	v_med3_i32 v23, v23, 0, 13
	v_mul_f64 v[4:5], v[14:15], s[20:21]
	v_and_b32_e32 v14, 7, v18
	v_add_co_ci_u32_e32 v12, vcc_lo, s22, v12, vcc_lo
	v_lshrrev_b32_e32 v27, v23, v26
	v_lshrrev_b32_e32 v18, 2, v18
	v_cmp_lt_i32_e32 vcc_lo, 5, v14
	v_cmp_eq_u32_e64 s0, 3, v14
	global_store_dword v[11:12], v20, off
	v_lshlrev_b32_e32 v15, v23, v27
	s_or_b32 vcc_lo, s0, vcc_lo
	v_cmp_ne_u32_e64 s1, v15, v26
	v_add_co_ci_u32_e32 v18, vcc_lo, 0, v18, vcc_lo
	v_cvt_f64_f32_e32 v[14:15], v9
	v_add_nc_u32_e32 v9, 0xfffffc10, v25
	v_cndmask_b32_e64 v21, 0, 1, s1
	v_cmp_ne_u32_e32 vcc_lo, 0, v2
	v_and_or_b32 v4, 0x1ff, v5, v4
	v_lshl_or_b32 v23, v9, 12, v6
	v_or_b32_e32 v21, v27, v21
	v_cndmask_b32_e64 v2, 0, 1, vcc_lo
	v_cmp_gt_i32_e32 vcc_lo, 1, v9
	v_bfe_u32 v24, v5, 20, 11
	v_lshl_or_b32 v2, v2, 9, 0x7c00
	v_cndmask_b32_e32 v21, v23, v21, vcc_lo
	v_cmp_ne_u32_e32 vcc_lo, 0, v4
	v_lshrrev_b32_e32 v23, 8, v5
	v_and_b32_e32 v25, 7, v21
	v_cndmask_b32_e64 v4, 0, 1, vcc_lo
	v_cmp_gt_i32_e32 vcc_lo, 31, v22
	v_mul_f64 v[14:15], v[14:15], s[20:21]
	v_cmp_eq_u32_e64 s0, 3, v25
	v_and_or_b32 v4, 0xffe, v23, v4
	v_cndmask_b32_e32 v18, 0x7c00, v18, vcc_lo
	v_cmp_eq_u32_e32 vcc_lo, 0x40f, v22
	v_sub_nc_u32_e32 v23, 0x3f1, v24
	v_cndmask_b32_e32 v2, v18, v2, vcc_lo
	v_cmp_lt_i32_e32 vcc_lo, 5, v25
	v_med3_i32 v22, v23, 0, 13
	v_or_b32_e32 v18, 0x1000, v4
	v_lshrrev_b32_e32 v25, 16, v10
	v_and_or_b32 v23, 0x8000, v3, v2
	v_lshrrev_b32_e32 v2, 2, v21
	s_or_b32 vcc_lo, s0, vcc_lo
	v_lshrrev_b32_e32 v21, v22, v18
	v_add_co_ci_u32_e32 v2, vcc_lo, 0, v2, vcc_lo
	v_cmp_ne_u32_e32 vcc_lo, 0, v6
	v_lshlrev_b32_e32 v22, v22, v21
	s_waitcnt vmcnt(3)
	v_mul_f16_sdwa v6, v25, v19 dst_sel:DWORD dst_unused:UNUSED_PAD src0_sel:DWORD src1_sel:WORD_1
	v_cndmask_b32_e64 v3, 0, 1, vcc_lo
	v_cmp_gt_i32_e32 vcc_lo, 31, v9
	v_fmac_f16_e32 v6, v10, v19
	v_mul_f16_sdwa v10, v10, v19 dst_sel:DWORD dst_unused:UNUSED_PAD src0_sel:DWORD src1_sel:WORD_1
	v_lshl_or_b32 v27, v3, 9, 0x7c00
	v_cndmask_b32_e32 v26, 0x7c00, v2, vcc_lo
	v_and_or_b32 v2, 0x1ff, v15, v14
	v_cmp_ne_u32_e32 vcc_lo, v22, v18
	v_cvt_f32_f16_e32 v3, v6
	v_add_nc_u32_e32 v18, 0xfffffc10, v24
	v_lshrrev_b32_e32 v22, 8, v15
	v_bfe_u32 v24, v15, 20, 11
	v_cndmask_b32_e64 v14, 0, 1, vcc_lo
	v_cmp_ne_u32_e32 vcc_lo, 0, v2
	v_cvt_f64_f32_e32 v[2:3], v3
	v_lshrrev_b32_e32 v15, 16, v15
	v_or_b32_e32 v14, v21, v14
	v_cndmask_b32_e64 v6, 0, 1, vcc_lo
	v_cmp_eq_u32_e32 vcc_lo, 0x40f, v9
	v_lshl_or_b32 v21, v18, 12, v4
	v_and_or_b32 v22, 0xffe, v22, v6
	v_cndmask_b32_e32 v9, v26, v27, vcc_lo
	v_sub_nc_u32_e32 v6, 0x3f1, v24
	v_cmp_gt_i32_e32 vcc_lo, 1, v18
	v_and_or_b32 v7, 0x8000, v7, v9
	v_med3_i32 v6, v6, 0, 13
	v_cndmask_b32_e32 v14, v21, v14, vcc_lo
	v_or_b32_e32 v21, 0x1000, v22
	v_and_b32_e32 v9, 0xffff, v23
	v_and_b32_e32 v23, 7, v14
	v_lshrrev_b32_e32 v26, v6, v21
	v_mul_f64 v[2:3], v[2:3], s[20:21]
	v_lshl_or_b32 v20, v7, 16, v9
	v_fma_f16 v7, v19, v25, -v10
	v_cmp_lt_i32_e32 vcc_lo, 5, v23
	v_lshlrev_b32_e32 v6, v6, v26
	v_cmp_eq_u32_e64 s0, 3, v23
	v_lshrrev_b32_e32 v14, 2, v14
	v_cvt_f32_f16_e32 v9, v7
	v_cmp_ne_u32_e64 s1, v6, v21
	ds_read2_b32 v[6:7], v13 offset0:110 offset1:236
	s_or_b32 vcc_lo, s0, vcc_lo
	v_add_nc_u32_e32 v21, 0xfffffc10, v24
	v_add_co_ci_u32_e32 v13, vcc_lo, 0, v14, vcc_lo
	v_cndmask_b32_e64 v19, 0, 1, s1
	v_add_co_u32 v11, vcc_lo, v11, s19
	v_add_co_ci_u32_e32 v12, vcc_lo, s22, v12, vcc_lo
	v_or_b32_e32 v14, v26, v19
	v_lshl_or_b32 v19, v21, 12, v22
	v_cmp_gt_i32_e32 vcc_lo, 1, v21
	v_cvt_f64_f32_e32 v[9:10], v9
	v_and_or_b32 v2, 0x1ff, v3, v2
	v_lshrrev_b32_e32 v24, 8, v3
	v_bfe_u32 v25, v3, 20, 11
	v_cndmask_b32_e32 v14, v19, v14, vcc_lo
	v_cmp_gt_i32_e32 vcc_lo, 31, v18
	global_store_dword v[11:12], v20, off
	s_waitcnt lgkmcnt(0)
	v_lshrrev_b32_e32 v23, 16, v6
	v_cndmask_b32_e32 v19, 0x7c00, v13, vcc_lo
	v_cmp_ne_u32_e32 vcc_lo, 0, v4
	v_and_b32_e32 v13, 7, v14
	s_waitcnt vmcnt(2)
	v_mul_f16_sdwa v26, v23, v16 dst_sel:DWORD dst_unused:UNUSED_PAD src0_sel:DWORD src1_sel:WORD_1
	v_cndmask_b32_e64 v4, 0, 1, vcc_lo
	v_cmp_ne_u32_e32 vcc_lo, 0, v2
	v_cmp_eq_u32_e64 s0, 3, v13
	v_fmac_f16_e32 v26, v6, v16
	v_mul_f16_sdwa v6, v6, v16 dst_sel:DWORD dst_unused:UNUSED_PAD src0_sel:DWORD src1_sel:WORD_1
	v_lshl_or_b32 v4, v4, 9, 0x7c00
	v_cndmask_b32_e64 v2, 0, 1, vcc_lo
	v_cmp_lt_i32_e32 vcc_lo, 5, v13
	v_mul_f64 v[9:10], v[9:10], s[20:21]
	v_lshrrev_b32_e32 v13, 2, v14
	v_cvt_f32_f16_e32 v14, v26
	v_and_or_b32 v2, 0xffe, v24, v2
	v_sub_nc_u32_e32 v24, 0x3f1, v25
	s_or_b32 vcc_lo, s0, vcc_lo
	v_fma_f16 v6, v16, v23, -v6
	v_add_co_ci_u32_e32 v26, vcc_lo, 0, v13, vcc_lo
	v_or_b32_e32 v27, 0x1000, v2
	v_med3_i32 v24, v24, 0, 13
	v_cmp_eq_u32_e32 vcc_lo, 0x40f, v18
	v_cvt_f64_f32_e32 v[13:14], v14
	v_cvt_f32_f16_e32 v6, v6
	v_lshrrev_b32_e32 v28, v24, v27
	v_cndmask_b32_e32 v18, v19, v4, vcc_lo
	v_cmp_gt_i32_e32 vcc_lo, 31, v21
	v_lshrrev_b32_e32 v19, 16, v5
	v_lshlrev_b32_e32 v4, v24, v28
	v_cndmask_b32_e32 v24, 0x7c00, v26, vcc_lo
	v_cmp_ne_u32_e32 vcc_lo, 0, v22
	v_and_or_b32 v5, 0x1ff, v10, v9
	v_add_nc_u32_e32 v22, 0xfffffc10, v25
	v_lshrrev_b32_e32 v25, 8, v10
	v_bfe_u32 v26, v10, 20, 11
	v_cndmask_b32_e64 v9, 0, 1, vcc_lo
	v_cmp_ne_u32_e32 vcc_lo, v4, v27
	v_and_or_b32 v18, 0x8000, v19, v18
	v_lshrrev_b32_e32 v10, 16, v10
	v_sub_nc_u32_e32 v29, 0x3f1, v26
	v_lshl_or_b32 v9, v9, 9, 0x7c00
	v_cndmask_b32_e64 v4, 0, 1, vcc_lo
	v_cmp_ne_u32_e32 vcc_lo, 0, v5
	v_add_nc_u32_e32 v16, 0xfffffc10, v26
	v_or_b32_e32 v27, v28, v4
	v_cndmask_b32_e64 v5, 0, 1, vcc_lo
	v_cmp_eq_u32_e32 vcc_lo, 0x40f, v21
	v_lshl_or_b32 v28, v22, 12, v2
	v_and_or_b32 v25, 0xffe, v25, v5
	v_mul_f64 v[4:5], v[13:14], s[20:21]
	v_cndmask_b32_e32 v9, v24, v9, vcc_lo
	v_cmp_gt_i32_e32 vcc_lo, 1, v22
	v_med3_i32 v14, v29, 0, 13
	v_or_b32_e32 v13, 0x1000, v25
	v_and_or_b32 v9, 0x8000, v15, v9
	v_cndmask_b32_e32 v21, v28, v27, vcc_lo
	v_and_b32_e32 v15, 0xffff, v18
	v_lshrrev_b32_e32 v19, v14, v13
	v_and_b32_e32 v20, 7, v21
	v_lshrrev_b32_e32 v18, 2, v21
	v_lshlrev_b32_e32 v14, v14, v19
	v_lshl_or_b32 v24, v9, 16, v15
	v_lshrrev_b32_e32 v15, 16, v7
	v_cmp_lt_i32_e32 vcc_lo, 5, v20
	v_cmp_eq_u32_e64 s0, 3, v20
	v_cmp_ne_u32_e64 s1, v14, v13
	v_lshl_or_b32 v20, v16, 12, v25
	v_and_or_b32 v4, 0x1ff, v5, v4
	s_or_b32 vcc_lo, s0, vcc_lo
	v_cndmask_b32_e64 v13, 0, 1, s1
	v_add_co_ci_u32_e32 v18, vcc_lo, 0, v18, vcc_lo
	v_cmp_ne_u32_e32 vcc_lo, 0, v4
	v_bfe_u32 v21, v5, 20, 11
	v_or_b32_e32 v19, v19, v13
	v_cvt_f64_f32_e32 v[13:14], v6
	v_lshrrev_b32_e32 v6, 8, v5
	v_cndmask_b32_e64 v4, 0, 1, vcc_lo
	v_cmp_ne_u32_e32 vcc_lo, 0, v2
	v_and_or_b32 v4, 0xffe, v6, v4
	v_cndmask_b32_e64 v2, 0, 1, vcc_lo
	v_cmp_gt_i32_e32 vcc_lo, 1, v16
	v_sub_nc_u32_e32 v6, 0x3f1, v21
	v_add_nc_u32_e32 v21, 0xfffffc10, v21
	v_or_b32_e32 v23, 0x1000, v4
	v_lshl_or_b32 v2, v2, 9, 0x7c00
	v_cndmask_b32_e32 v19, v20, v19, vcc_lo
	v_cmp_gt_i32_e32 vcc_lo, 31, v22
	v_med3_i32 v6, v6, 0, 13
	v_and_b32_e32 v20, 7, v19
	v_cndmask_b32_e32 v18, 0x7c00, v18, vcc_lo
	v_cmp_eq_u32_e32 vcc_lo, 0x40f, v22
	v_mul_f64 v[13:14], v[13:14], s[20:21]
	v_cmp_eq_u32_e64 s0, 3, v20
	v_cndmask_b32_e32 v9, v18, v2, vcc_lo
	v_cmp_lt_i32_e32 vcc_lo, 5, v20
	v_lshrrev_b32_e32 v18, 16, v3
	v_lshrrev_b32_e32 v3, 2, v19
	;; [unrolled: 1-line block ×3, first 2 shown]
	s_waitcnt vmcnt(1)
	v_mul_f16_sdwa v19, v15, v8 dst_sel:DWORD dst_unused:UNUSED_PAD src0_sel:DWORD src1_sel:WORD_1
	s_or_b32 vcc_lo, s0, vcc_lo
	v_and_or_b32 v9, 0x8000, v18, v9
	v_add_co_ci_u32_e32 v3, vcc_lo, 0, v3, vcc_lo
	v_lshlrev_b32_e32 v6, v6, v2
	v_cmp_ne_u32_e32 vcc_lo, 0, v25
	v_fmac_f16_e32 v19, v7, v8
	v_cndmask_b32_e64 v20, 0, 1, vcc_lo
	v_cmp_ne_u32_e32 vcc_lo, v6, v23
	v_cvt_f32_f16_e32 v19, v19
	v_and_or_b32 v13, 0x1ff, v14, v13
	v_mul_f16_sdwa v23, v7, v8 dst_sel:DWORD dst_unused:UNUSED_PAD src0_sel:DWORD src1_sel:WORD_1
	v_lshl_or_b32 v20, v20, 9, 0x7c00
	v_cndmask_b32_e64 v6, 0, 1, vcc_lo
	v_cmp_gt_i32_e32 vcc_lo, 31, v16
	v_fma_f16 v8, v8, v15, -v23
	v_or_b32_e32 v6, v2, v6
	v_cndmask_b32_e32 v22, 0x7c00, v3, vcc_lo
	v_cmp_eq_u32_e32 vcc_lo, 0x40f, v16
	v_cvt_f64_f32_e32 v[2:3], v19
	v_lshl_or_b32 v19, v21, 12, v4
	v_cvt_f32_f16_e32 v8, v8
	v_cndmask_b32_e32 v16, v22, v20, vcc_lo
	v_cmp_gt_i32_e32 vcc_lo, 1, v21
	v_bfe_u32 v20, v14, 20, 11
	v_and_or_b32 v16, 0x8000, v10, v16
	v_cndmask_b32_e32 v6, v19, v6, vcc_lo
	v_cmp_ne_u32_e32 vcc_lo, 0, v13
	v_lshrrev_b32_e32 v19, 8, v14
	v_sub_nc_u32_e32 v10, 0x3f1, v20
	v_and_b32_e32 v18, 7, v6
	v_cndmask_b32_e64 v13, 0, 1, vcc_lo
	v_lshrrev_b32_e32 v6, 2, v6
	v_med3_i32 v22, v10, 0, 13
	v_cmp_lt_i32_e32 vcc_lo, 5, v18
	v_and_or_b32 v13, 0xffe, v19, v13
	v_cmp_eq_u32_e64 s0, 3, v18
	v_mul_f64 v[2:3], v[2:3], s[20:21]
	v_and_b32_e32 v19, 0xffff, v9
	v_add_co_u32 v9, s1, v11, s19
	v_or_b32_e32 v18, 0x1000, v13
	s_or_b32 vcc_lo, s0, vcc_lo
	v_add_co_ci_u32_e64 v10, s1, s22, v12, s1
	v_add_co_ci_u32_e32 v6, vcc_lo, 0, v6, vcc_lo
	v_lshrrev_b32_e32 v11, v22, v18
	v_cmp_ne_u32_e32 vcc_lo, 0, v4
	v_lshl_or_b32 v19, v16, 16, v19
	v_add_nc_u32_e32 v16, 0x1400, v40
	v_lshlrev_b32_e32 v12, v22, v11
	v_cndmask_b32_e64 v4, 0, 1, vcc_lo
	v_cmp_gt_i32_e32 vcc_lo, 31, v21
	v_lshl_or_b32 v4, v4, 9, 0x7c00
	v_cndmask_b32_e32 v22, 0x7c00, v6, vcc_lo
	v_cmp_ne_u32_e32 vcc_lo, v12, v18
	ds_read2_b32 v[6:7], v16 offset0:106 offset1:232
	v_and_or_b32 v2, 0x1ff, v3, v2
	v_add_nc_u32_e32 v18, 0xfffffc10, v20
	v_lshrrev_b32_e32 v20, 8, v3
	v_cndmask_b32_e64 v12, 0, 1, vcc_lo
	v_cmp_eq_u32_e32 vcc_lo, 0x40f, v21
	v_bfe_u32 v21, v3, 20, 11
	v_lshl_or_b32 v16, v18, 12, v13
	v_lshrrev_b32_e32 v3, 16, v3
	v_cndmask_b32_e32 v15, v22, v4, vcc_lo
	v_cmp_ne_u32_e32 vcc_lo, 0, v2
	v_or_b32_e32 v4, v11, v12
	v_cvt_f64_f32_e32 v[11:12], v8
	v_cndmask_b32_e64 v2, 0, 1, vcc_lo
	v_cmp_gt_i32_e32 vcc_lo, 1, v18
	v_and_or_b32 v2, 0xffe, v20, v2
	v_cndmask_b32_e32 v8, v16, v4, vcc_lo
	v_sub_nc_u32_e32 v4, 0x3f1, v21
	s_waitcnt lgkmcnt(0)
	v_lshrrev_b32_e32 v20, 16, v6
	v_lshrrev_b32_e32 v16, 16, v5
	v_or_b32_e32 v23, 0x1000, v2
	v_and_b32_e32 v22, 7, v8
	v_med3_i32 v25, v4, 0, 13
	s_waitcnt vmcnt(0)
	v_mul_f16_sdwa v26, v20, v17 dst_sel:DWORD dst_unused:UNUSED_PAD src0_sel:DWORD src1_sel:WORD_1
	v_add_co_u32 v4, vcc_lo, v9, s19
	v_add_co_ci_u32_e32 v5, vcc_lo, s22, v10, vcc_lo
	v_lshrrev_b32_e32 v28, v25, v23
	v_fmac_f16_e32 v26, v6, v17
	v_cmp_lt_i32_e32 vcc_lo, 5, v22
	v_cmp_eq_u32_e64 s0, 3, v22
	v_lshrrev_b32_e32 v8, 2, v8
	v_lshlrev_b32_e32 v22, v25, v28
	v_and_or_b32 v27, 0x8000, v16, v15
	v_cvt_f32_f16_e32 v15, v26
	s_or_b32 vcc_lo, s0, vcc_lo
	v_mul_f64 v[11:12], v[11:12], s[20:21]
	v_add_co_ci_u32_e32 v8, vcc_lo, 0, v8, vcc_lo
	v_cmp_ne_u32_e32 vcc_lo, v22, v23
	v_cvt_f64_f32_e32 v[15:16], v15
	v_add_nc_u32_e32 v21, 0xfffffc10, v21
	v_mul_f16_sdwa v6, v6, v17 dst_sel:DWORD dst_unused:UNUSED_PAD src0_sel:DWORD src1_sel:WORD_1
	v_cndmask_b32_e64 v22, 0, 1, vcc_lo
	v_cmp_ne_u32_e32 vcc_lo, 0, v13
	v_lshl_or_b32 v23, v21, 12, v2
	v_fma_f16 v6, v17, v20, -v6
	v_or_b32_e32 v22, v28, v22
	v_cndmask_b32_e64 v13, 0, 1, vcc_lo
	v_cmp_gt_i32_e32 vcc_lo, 31, v18
	v_cvt_f32_f16_e32 v6, v6
	v_lshl_or_b32 v13, v13, 9, 0x7c00
	v_cndmask_b32_e32 v8, 0x7c00, v8, vcc_lo
	v_cmp_gt_i32_e32 vcc_lo, 1, v21
	v_and_or_b32 v11, 0x1ff, v12, v11
	v_lshrrev_b32_e32 v20, 8, v12
	v_cndmask_b32_e32 v17, v23, v22, vcc_lo
	v_cmp_eq_u32_e32 vcc_lo, 0x40f, v18
	v_mul_f64 v[15:16], v[15:16], s[20:21]
	v_lshrrev_b32_e32 v18, 16, v14
	v_bfe_u32 v22, v12, 20, 11
	v_lshrrev_b32_e32 v12, 16, v12
	v_cndmask_b32_e32 v8, v8, v13, vcc_lo
	v_cvt_f64_f32_e32 v[13:14], v6
	v_cmp_ne_u32_e32 vcc_lo, 0, v11
	v_and_b32_e32 v6, 7, v17
	v_and_or_b32 v8, 0x8000, v18, v8
	v_and_b32_e32 v18, 0xffff, v27
	v_cndmask_b32_e64 v11, 0, 1, vcc_lo
	v_cmp_lt_i32_e32 vcc_lo, 5, v6
	v_cmp_eq_u32_e64 s0, 3, v6
	v_lshl_or_b32 v6, v8, 16, v18
	v_lshrrev_b32_e32 v8, 2, v17
	v_and_or_b32 v11, 0xffe, v20, v11
	v_sub_nc_u32_e32 v20, 0x3f1, v22
	s_or_b32 vcc_lo, s0, vcc_lo
	v_add_co_ci_u32_e32 v8, vcc_lo, 0, v8, vcc_lo
	v_or_b32_e32 v17, 0x1000, v11
	v_med3_i32 v18, v20, 0, 13
	v_cmp_ne_u32_e32 vcc_lo, 0, v2
	v_and_or_b32 v15, 0x1ff, v16, v15
	v_mul_f64 v[13:14], v[13:14], s[20:21]
	v_lshrrev_b32_e32 v23, 8, v16
	v_lshrrev_b32_e32 v20, v18, v17
	v_cndmask_b32_e64 v2, 0, 1, vcc_lo
	v_cmp_gt_i32_e32 vcc_lo, 31, v21
	v_bfe_u32 v25, v16, 20, 11
	v_lshlrev_b32_e32 v18, v18, v20
	v_lshl_or_b32 v2, v2, 9, 0x7c00
	v_cndmask_b32_e32 v8, 0x7c00, v8, vcc_lo
	v_cmp_ne_u32_e32 vcc_lo, 0, v15
	v_cndmask_b32_e64 v15, 0, 1, vcc_lo
	v_cmp_ne_u32_e32 vcc_lo, v18, v17
	v_add_nc_u32_e32 v18, 0xfffffc10, v22
	v_sub_nc_u32_e32 v22, 0x3f1, v25
	v_and_or_b32 v15, 0xffe, v23, v15
	v_cndmask_b32_e64 v17, 0, 1, vcc_lo
	v_cmp_eq_u32_e32 vcc_lo, 0x40f, v21
	v_med3_i32 v21, v22, 0, 13
	v_and_or_b32 v13, 0x1ff, v14, v13
	v_lshrrev_b32_e32 v22, 8, v14
	v_bfe_u32 v23, v14, 20, 11
	v_cndmask_b32_e32 v2, v8, v2, vcc_lo
	v_or_b32_e32 v8, v20, v17
	v_lshl_or_b32 v17, v18, 12, v11
	v_or_b32_e32 v20, 0x1000, v15
	v_cmp_gt_i32_e32 vcc_lo, 1, v18
	v_and_or_b32 v2, 0x8000, v3, v2
	v_lshrrev_b32_e32 v14, 16, v14
	v_cndmask_b32_e32 v8, v17, v8, vcc_lo
	v_lshrrev_b32_e32 v17, v21, v20
	v_cmp_ne_u32_e32 vcc_lo, 0, v13
	v_and_b32_e32 v26, 7, v8
	v_lshlrev_b32_e32 v21, v21, v17
	v_cndmask_b32_e64 v13, 0, 1, vcc_lo
	v_lshrrev_b32_e32 v8, 2, v8
	v_cmp_lt_i32_e32 vcc_lo, 5, v26
	v_cmp_ne_u32_e64 s0, v21, v20
	v_and_or_b32 v3, 0xffe, v22, v13
	v_sub_nc_u32_e32 v13, 0x3f1, v23
	v_add_nc_u32_e32 v22, 0xfffffc10, v25
	v_cndmask_b32_e64 v20, 0, 1, s0
	v_cmp_eq_u32_e64 s0, 3, v26
	v_or_b32_e32 v21, 0x1000, v3
	v_med3_i32 v13, v13, 0, 13
	v_lshl_or_b32 v25, v22, 12, v15
	v_or_b32_e32 v17, v17, v20
	s_or_b32 vcc_lo, s0, vcc_lo
	v_add_co_ci_u32_e32 v8, vcc_lo, 0, v8, vcc_lo
	v_lshrrev_b32_e32 v20, v13, v21
	v_cmp_gt_i32_e32 vcc_lo, 1, v22
	v_lshlrev_b32_e32 v13, v13, v20
	v_cndmask_b32_e32 v17, v25, v17, vcc_lo
	v_cmp_ne_u32_e32 vcc_lo, 0, v11
	v_cndmask_b32_e64 v11, 0, 1, vcc_lo
	v_cmp_ne_u32_e32 vcc_lo, v13, v21
	v_add_nc_u32_e32 v21, 0xfffffc10, v23
	v_and_b32_e32 v23, 7, v17
	v_lshl_or_b32 v11, v11, 9, 0x7c00
	v_cndmask_b32_e64 v13, 0, 1, vcc_lo
	v_cmp_gt_i32_e32 vcc_lo, 31, v18
	v_cmp_gt_i32_e64 s1, 1, v21
	v_cmp_eq_u32_e64 s0, 3, v23
	v_or_b32_e32 v13, v20, v13
	v_lshl_or_b32 v20, v21, 12, v3
	v_cndmask_b32_e32 v8, 0x7c00, v8, vcc_lo
	v_cmp_lt_i32_e32 vcc_lo, 5, v23
	v_cndmask_b32_e64 v13, v20, v13, s1
	v_cmp_eq_u32_e64 s1, 0x40f, v18
	s_or_b32 vcc_lo, s0, vcc_lo
	v_cndmask_b32_e64 v8, v8, v11, s1
	v_lshrrev_b32_e32 v11, 2, v17
	v_and_b32_e32 v17, 7, v13
	v_lshrrev_b32_e32 v13, 2, v13
	v_cmp_gt_i32_e64 s1, 31, v22
	v_and_or_b32 v8, 0x8000, v12, v8
	v_add_co_ci_u32_e32 v11, vcc_lo, 0, v11, vcc_lo
	v_cmp_ne_u32_e32 vcc_lo, 0, v15
	v_cmp_eq_u32_e64 s0, 3, v17
	v_and_b32_e32 v12, 0xffff, v2
	v_cndmask_b32_e64 v11, 0x7c00, v11, s1
	v_cndmask_b32_e64 v15, 0, 1, vcc_lo
	v_cmp_lt_i32_e32 vcc_lo, 5, v17
	v_lshl_or_b32 v8, v8, 16, v12
	v_lshl_or_b32 v15, v15, 9, 0x7c00
	s_or_b32 vcc_lo, s0, vcc_lo
	v_add_co_ci_u32_e32 v13, vcc_lo, 0, v13, vcc_lo
	v_cmp_ne_u32_e32 vcc_lo, 0, v3
	v_cndmask_b32_e64 v3, 0, 1, vcc_lo
	v_cmp_eq_u32_e32 vcc_lo, 0x40f, v22
	v_lshl_or_b32 v3, v3, 9, 0x7c00
	v_cndmask_b32_e32 v11, v11, v15, vcc_lo
	v_cmp_gt_i32_e32 vcc_lo, 31, v21
	v_lshrrev_b32_e32 v15, 16, v16
	v_cndmask_b32_e32 v13, 0x7c00, v13, vcc_lo
	v_cmp_eq_u32_e32 vcc_lo, 0x40f, v21
	v_and_or_b32 v11, 0x8000, v15, v11
	v_cndmask_b32_e32 v13, v13, v3, vcc_lo
	v_add_co_u32 v2, vcc_lo, v4, s19
	v_add_co_ci_u32_e32 v3, vcc_lo, s22, v5, vcc_lo
	v_and_or_b32 v13, 0x8000, v14, v13
	v_and_b32_e32 v14, 0xffff, v11
	v_add_co_u32 v11, vcc_lo, v2, s19
	v_add_co_ci_u32_e32 v12, vcc_lo, s22, v3, vcc_lo
	v_lshl_or_b32 v15, v13, 16, v14
	v_add_co_u32 v13, vcc_lo, v11, s19
	v_add_co_ci_u32_e32 v14, vcc_lo, s22, v12, vcc_lo
	global_store_dword v[9:10], v24, off
	global_store_dword v[4:5], v19, off
	;; [unrolled: 1-line block ×5, first 2 shown]
	global_load_dword v0, v[0:1], off offset:1952
	v_lshrrev_b32_e32 v1, 16, v7
	s_waitcnt vmcnt(0)
	v_mul_f16_sdwa v2, v1, v0 dst_sel:DWORD dst_unused:UNUSED_PAD src0_sel:DWORD src1_sel:WORD_1
	v_mul_f16_sdwa v3, v7, v0 dst_sel:DWORD dst_unused:UNUSED_PAD src0_sel:DWORD src1_sel:WORD_1
	v_fmac_f16_e32 v2, v7, v0
	v_fma_f16 v0, v0, v1, -v3
	v_cvt_f32_f16_e32 v1, v2
	v_cvt_f32_f16_e32 v2, v0
	v_cvt_f64_f32_e32 v[0:1], v1
	v_cvt_f64_f32_e32 v[2:3], v2
	v_mul_f64 v[0:1], v[0:1], s[20:21]
	v_mul_f64 v[2:3], v[2:3], s[20:21]
	v_and_or_b32 v0, 0x1ff, v1, v0
	v_and_or_b32 v2, 0x1ff, v3, v2
	v_lshrrev_b32_e32 v4, 8, v1
	v_bfe_u32 v5, v1, 20, 11
	v_lshrrev_b32_e32 v6, 8, v3
	v_cmp_ne_u32_e32 vcc_lo, 0, v0
	v_bfe_u32 v7, v3, 20, 11
	v_lshrrev_b32_e32 v1, 16, v1
	v_lshrrev_b32_e32 v3, 16, v3
	v_cndmask_b32_e64 v0, 0, 1, vcc_lo
	v_cmp_ne_u32_e32 vcc_lo, 0, v2
	v_and_or_b32 v0, 0xffe, v4, v0
	v_cndmask_b32_e64 v2, 0, 1, vcc_lo
	v_sub_nc_u32_e32 v4, 0x3f1, v5
	v_add_nc_u32_e32 v5, 0xfffffc10, v5
	v_or_b32_e32 v8, 0x1000, v0
	v_and_or_b32 v2, 0xffe, v6, v2
	v_sub_nc_u32_e32 v6, 0x3f1, v7
	v_med3_i32 v4, v4, 0, 13
	v_add_nc_u32_e32 v7, 0xfffffc10, v7
	v_or_b32_e32 v9, 0x1000, v2
	v_med3_i32 v6, v6, 0, 13
	v_lshrrev_b32_e32 v10, v4, v8
	v_lshrrev_b32_e32 v11, v6, v9
	v_lshlrev_b32_e32 v4, v4, v10
	v_lshlrev_b32_e32 v6, v6, v11
	v_cmp_ne_u32_e32 vcc_lo, v4, v8
	v_lshl_or_b32 v8, v5, 12, v0
	v_cndmask_b32_e64 v4, 0, 1, vcc_lo
	v_cmp_ne_u32_e32 vcc_lo, v6, v9
	v_lshl_or_b32 v9, v7, 12, v2
	v_or_b32_e32 v4, v10, v4
	v_cndmask_b32_e64 v6, 0, 1, vcc_lo
	v_cmp_gt_i32_e32 vcc_lo, 1, v5
	v_or_b32_e32 v6, v11, v6
	v_cndmask_b32_e32 v4, v8, v4, vcc_lo
	v_cmp_gt_i32_e32 vcc_lo, 1, v7
	v_and_b32_e32 v8, 7, v4
	v_cndmask_b32_e32 v6, v9, v6, vcc_lo
	v_lshrrev_b32_e32 v4, 2, v4
	v_cmp_lt_i32_e32 vcc_lo, 5, v8
	v_cmp_eq_u32_e64 s0, 3, v8
	v_and_b32_e32 v9, 7, v6
	v_lshrrev_b32_e32 v6, 2, v6
	s_or_b32 vcc_lo, s0, vcc_lo
	v_cmp_lt_i32_e64 s1, 5, v9
	v_add_co_ci_u32_e32 v4, vcc_lo, 0, v4, vcc_lo
	v_cmp_eq_u32_e64 s2, 3, v9
	v_cmp_ne_u32_e32 vcc_lo, 0, v0
	v_cndmask_b32_e64 v0, 0, 1, vcc_lo
	s_or_b32 vcc_lo, s2, s1
	v_add_co_ci_u32_e32 v6, vcc_lo, 0, v6, vcc_lo
	v_cmp_ne_u32_e32 vcc_lo, 0, v2
	v_lshl_or_b32 v0, v0, 9, 0x7c00
	v_cndmask_b32_e64 v2, 0, 1, vcc_lo
	v_cmp_gt_i32_e32 vcc_lo, 31, v5
	v_lshl_or_b32 v2, v2, 9, 0x7c00
	v_cndmask_b32_e32 v4, 0x7c00, v4, vcc_lo
	v_cmp_gt_i32_e32 vcc_lo, 31, v7
	v_cndmask_b32_e32 v6, 0x7c00, v6, vcc_lo
	v_cmp_eq_u32_e32 vcc_lo, 0x40f, v5
	v_cndmask_b32_e32 v0, v4, v0, vcc_lo
	v_cmp_eq_u32_e32 vcc_lo, 0x40f, v7
	v_and_or_b32 v0, 0x8000, v1, v0
	v_cndmask_b32_e32 v2, v6, v2, vcc_lo
	v_and_b32_e32 v0, 0xffff, v0
	v_and_or_b32 v1, 0x8000, v3, v2
	v_lshl_or_b32 v2, v1, 16, v0
	v_add_co_u32 v0, vcc_lo, v13, s19
	v_add_co_ci_u32_e32 v1, vcc_lo, s22, v14, vcc_lo
	global_store_dword v[0:1], v2, off
.LBB0_31:
	s_endpgm
	.section	.rodata,"a",@progbits
	.p2align	6, 0x0
	.amdhsa_kernel bluestein_single_back_len1638_dim1_half_op_CI_CI
		.amdhsa_group_segment_fixed_size 6552
		.amdhsa_private_segment_fixed_size 0
		.amdhsa_kernarg_size 104
		.amdhsa_user_sgpr_count 6
		.amdhsa_user_sgpr_private_segment_buffer 1
		.amdhsa_user_sgpr_dispatch_ptr 0
		.amdhsa_user_sgpr_queue_ptr 0
		.amdhsa_user_sgpr_kernarg_segment_ptr 1
		.amdhsa_user_sgpr_dispatch_id 0
		.amdhsa_user_sgpr_flat_scratch_init 0
		.amdhsa_user_sgpr_private_segment_size 0
		.amdhsa_wavefront_size32 1
		.amdhsa_uses_dynamic_stack 0
		.amdhsa_system_sgpr_private_segment_wavefront_offset 0
		.amdhsa_system_sgpr_workgroup_id_x 1
		.amdhsa_system_sgpr_workgroup_id_y 0
		.amdhsa_system_sgpr_workgroup_id_z 0
		.amdhsa_system_sgpr_workgroup_info 0
		.amdhsa_system_vgpr_workitem_id 0
		.amdhsa_next_free_vgpr 222
		.amdhsa_next_free_sgpr 23
		.amdhsa_reserve_vcc 1
		.amdhsa_reserve_flat_scratch 0
		.amdhsa_float_round_mode_32 0
		.amdhsa_float_round_mode_16_64 0
		.amdhsa_float_denorm_mode_32 3
		.amdhsa_float_denorm_mode_16_64 3
		.amdhsa_dx10_clamp 1
		.amdhsa_ieee_mode 1
		.amdhsa_fp16_overflow 0
		.amdhsa_workgroup_processor_mode 1
		.amdhsa_memory_ordered 1
		.amdhsa_forward_progress 0
		.amdhsa_shared_vgpr_count 0
		.amdhsa_exception_fp_ieee_invalid_op 0
		.amdhsa_exception_fp_denorm_src 0
		.amdhsa_exception_fp_ieee_div_zero 0
		.amdhsa_exception_fp_ieee_overflow 0
		.amdhsa_exception_fp_ieee_underflow 0
		.amdhsa_exception_fp_ieee_inexact 0
		.amdhsa_exception_int_div_zero 0
	.end_amdhsa_kernel
	.text
.Lfunc_end0:
	.size	bluestein_single_back_len1638_dim1_half_op_CI_CI, .Lfunc_end0-bluestein_single_back_len1638_dim1_half_op_CI_CI
                                        ; -- End function
	.section	.AMDGPU.csdata,"",@progbits
; Kernel info:
; codeLenInByte = 24752
; NumSgprs: 25
; NumVgprs: 222
; ScratchSize: 0
; MemoryBound: 0
; FloatMode: 240
; IeeeMode: 1
; LDSByteSize: 6552 bytes/workgroup (compile time only)
; SGPRBlocks: 3
; VGPRBlocks: 27
; NumSGPRsForWavesPerEU: 25
; NumVGPRsForWavesPerEU: 222
; Occupancy: 4
; WaveLimiterHint : 1
; COMPUTE_PGM_RSRC2:SCRATCH_EN: 0
; COMPUTE_PGM_RSRC2:USER_SGPR: 6
; COMPUTE_PGM_RSRC2:TRAP_HANDLER: 0
; COMPUTE_PGM_RSRC2:TGID_X_EN: 1
; COMPUTE_PGM_RSRC2:TGID_Y_EN: 0
; COMPUTE_PGM_RSRC2:TGID_Z_EN: 0
; COMPUTE_PGM_RSRC2:TIDIG_COMP_CNT: 0
	.text
	.p2alignl 6, 3214868480
	.fill 48, 4, 3214868480
	.type	__hip_cuid_db5065763c0d1996,@object ; @__hip_cuid_db5065763c0d1996
	.section	.bss,"aw",@nobits
	.globl	__hip_cuid_db5065763c0d1996
__hip_cuid_db5065763c0d1996:
	.byte	0                               ; 0x0
	.size	__hip_cuid_db5065763c0d1996, 1

	.ident	"AMD clang version 19.0.0git (https://github.com/RadeonOpenCompute/llvm-project roc-6.4.0 25133 c7fe45cf4b819c5991fe208aaa96edf142730f1d)"
	.section	".note.GNU-stack","",@progbits
	.addrsig
	.addrsig_sym __hip_cuid_db5065763c0d1996
	.amdgpu_metadata
---
amdhsa.kernels:
  - .args:
      - .actual_access:  read_only
        .address_space:  global
        .offset:         0
        .size:           8
        .value_kind:     global_buffer
      - .actual_access:  read_only
        .address_space:  global
        .offset:         8
        .size:           8
        .value_kind:     global_buffer
      - .actual_access:  read_only
        .address_space:  global
        .offset:         16
        .size:           8
        .value_kind:     global_buffer
      - .actual_access:  read_only
        .address_space:  global
        .offset:         24
        .size:           8
        .value_kind:     global_buffer
      - .actual_access:  read_only
        .address_space:  global
        .offset:         32
        .size:           8
        .value_kind:     global_buffer
      - .offset:         40
        .size:           8
        .value_kind:     by_value
      - .address_space:  global
        .offset:         48
        .size:           8
        .value_kind:     global_buffer
      - .address_space:  global
        .offset:         56
        .size:           8
        .value_kind:     global_buffer
      - .address_space:  global
        .offset:         64
        .size:           8
        .value_kind:     global_buffer
      - .address_space:  global
        .offset:         72
        .size:           8
        .value_kind:     global_buffer
      - .offset:         80
        .size:           4
        .value_kind:     by_value
      - .address_space:  global
        .offset:         88
        .size:           8
        .value_kind:     global_buffer
      - .address_space:  global
        .offset:         96
        .size:           8
        .value_kind:     global_buffer
    .group_segment_fixed_size: 6552
    .kernarg_segment_align: 8
    .kernarg_segment_size: 104
    .language:       OpenCL C
    .language_version:
      - 2
      - 0
    .max_flat_workgroup_size: 182
    .name:           bluestein_single_back_len1638_dim1_half_op_CI_CI
    .private_segment_fixed_size: 0
    .sgpr_count:     25
    .sgpr_spill_count: 0
    .symbol:         bluestein_single_back_len1638_dim1_half_op_CI_CI.kd
    .uniform_work_group_size: 1
    .uses_dynamic_stack: false
    .vgpr_count:     222
    .vgpr_spill_count: 0
    .wavefront_size: 32
    .workgroup_processor_mode: 1
amdhsa.target:   amdgcn-amd-amdhsa--gfx1030
amdhsa.version:
  - 1
  - 2
...

	.end_amdgpu_metadata
